;; amdgpu-corpus repo=ROCm/rocFFT kind=compiled arch=gfx906 opt=O3
	.text
	.amdgcn_target "amdgcn-amd-amdhsa--gfx906"
	.amdhsa_code_object_version 6
	.protected	bluestein_single_back_len864_dim1_sp_op_CI_CI ; -- Begin function bluestein_single_back_len864_dim1_sp_op_CI_CI
	.globl	bluestein_single_back_len864_dim1_sp_op_CI_CI
	.p2align	8
	.type	bluestein_single_back_len864_dim1_sp_op_CI_CI,@function
bluestein_single_back_len864_dim1_sp_op_CI_CI: ; @bluestein_single_back_len864_dim1_sp_op_CI_CI
; %bb.0:
	s_load_dwordx4 s[12:15], s[4:5], 0x28
	v_mul_u32_u24_e32 v1, 0x4be, v0
	v_add_u32_sdwa v134, s6, v1 dst_sel:DWORD dst_unused:UNUSED_PAD src0_sel:DWORD src1_sel:WORD_1
	v_mov_b32_e32 v135, 0
	s_waitcnt lgkmcnt(0)
	v_cmp_gt_u64_e32 vcc, s[12:13], v[134:135]
	s_and_saveexec_b64 s[0:1], vcc
	s_cbranch_execz .LBB0_31
; %bb.1:
	s_load_dwordx4 s[0:3], s[4:5], 0x18
	s_load_dwordx2 s[12:13], s[4:5], 0x0
	v_mov_b32_e32 v2, 54
	v_mul_lo_u16_sdwa v1, v1, v2 dst_sel:DWORD dst_unused:UNUSED_PAD src0_sel:WORD_1 src1_sel:DWORD
	v_sub_u16_e32 v155, v0, v1
	s_waitcnt lgkmcnt(0)
	s_load_dwordx4 s[8:11], s[0:1], 0x0
	v_lshlrev_b32_e32 v153, 3, v155
	v_or_b32_e32 v154, 0x240, v155
	v_lshlrev_b32_e32 v157, 3, v154
	s_waitcnt lgkmcnt(0)
	v_mad_u64_u32 v[0:1], s[0:1], s10, v134, 0
	v_mad_u64_u32 v[2:3], s[0:1], s8, v155, 0
	;; [unrolled: 1-line block ×4, first 2 shown]
	v_mov_b32_e32 v1, v4
	v_lshlrev_b64 v[0:1], 3, v[0:1]
	v_mov_b32_e32 v6, s15
	v_mov_b32_e32 v3, v5
	v_add_co_u32_e32 v7, vcc, s14, v0
	v_addc_co_u32_e32 v6, vcc, v6, v1, vcc
	v_lshlrev_b64 v[0:1], 3, v[2:3]
	v_mov_b32_e32 v2, s13
	v_add_co_u32_e32 v0, vcc, v7, v0
	v_addc_co_u32_e32 v1, vcc, v6, v1, vcc
	v_add_co_u32_e32 v112, vcc, s12, v153
	v_addc_co_u32_e32 v113, vcc, 0, v2, vcc
	v_mad_u64_u32 v[2:3], s[6:7], s8, v154, 0
	s_mul_i32 s0, s9, 0x120
	s_mul_hi_u32 s1, s8, 0x120
	s_add_i32 s1, s1, s0
	s_mul_i32 s0, s8, 0x120
	s_lshl_b64 s[14:15], s[0:1], 3
	v_mad_u64_u32 v[3:4], s[0:1], s9, v154, v[3:4]
	v_mov_b32_e32 v32, s15
	v_add_co_u32_e32 v4, vcc, s14, v0
	v_lshlrev_b64 v[2:3], 3, v[2:3]
	v_addc_co_u32_e32 v5, vcc, v1, v32, vcc
	v_add_co_u32_e32 v2, vcc, v7, v2
	v_addc_co_u32_e32 v3, vcc, v6, v3, vcc
	global_load_dwordx2 v[6:7], v[0:1], off
	global_load_dwordx2 v[8:9], v[4:5], off
	;; [unrolled: 1-line block ×3, first 2 shown]
	v_mov_b32_e32 v0, 0xfffff8b0
	v_mad_u64_u32 v[0:1], s[0:1], s8, v0, v[4:5]
	s_mul_i32 s0, s9, 0xfffff8b0
	s_sub_i32 s0, s0, s8
	v_add_u32_e32 v1, s0, v1
	global_load_dwordx2 v[139:140], v157, s[12:13]
	global_load_dwordx2 v[4:5], v[0:1], off
	global_load_dwordx2 v[143:144], v153, s[12:13]
	global_load_dwordx2 v[137:138], v153, s[12:13] offset:432
	v_add_co_u32_e32 v0, vcc, s14, v0
	v_addc_co_u32_e32 v1, vcc, v1, v32, vcc
	v_add_co_u32_e32 v2, vcc, s14, v0
	v_addc_co_u32_e32 v3, vcc, v1, v32, vcc
	s_movk_i32 s0, 0x1000
	s_mul_hi_u32 s1, s8, 0xfffffdf6
	global_load_dwordx2 v[141:142], v153, s[12:13] offset:2304
	global_load_dwordx2 v[135:136], v153, s[12:13] offset:2736
	global_load_dwordx2 v[12:13], v[0:1], off
	global_load_dwordx2 v[14:15], v[2:3], off
	v_add_co_u32_e32 v0, vcc, s0, v112
	s_mul_i32 s0, s9, 0xfffffdf6
	s_sub_i32 s1, s1, s8
	s_add_i32 s1, s1, s0
	s_mul_i32 s0, s8, 0xfffffdf6
	v_addc_co_u32_e32 v1, vcc, 0, v113, vcc
	s_lshl_b64 s[16:17], s[0:1], 3
	v_mov_b32_e32 v28, s17
	v_add_co_u32_e32 v2, vcc, s16, v2
	v_addc_co_u32_e32 v3, vcc, v3, v28, vcc
	global_load_dwordx2 v[132:133], v[0:1], off offset:944
	global_load_dwordx2 v[16:17], v[2:3], off
	global_load_dwordx2 v[130:131], v153, s[12:13] offset:864
	v_add_co_u32_e32 v2, vcc, s14, v2
	v_addc_co_u32_e32 v3, vcc, v3, v32, vcc
	global_load_dwordx2 v[18:19], v[2:3], off
	global_load_dwordx2 v[128:129], v153, s[12:13] offset:3168
	v_add_co_u32_e32 v2, vcc, s14, v2
	v_addc_co_u32_e32 v3, vcc, v3, v32, vcc
	global_load_dwordx2 v[20:21], v[2:3], off
	global_load_dwordx2 v[126:127], v[0:1], off offset:1376
	v_add_co_u32_e32 v2, vcc, s16, v2
	v_addc_co_u32_e32 v3, vcc, v3, v28, vcc
	global_load_dwordx2 v[22:23], v[2:3], off
	global_load_dwordx2 v[124:125], v153, s[12:13] offset:1296
	v_add_co_u32_e32 v2, vcc, s14, v2
	v_addc_co_u32_e32 v3, vcc, v3, v32, vcc
	global_load_dwordx2 v[24:25], v[2:3], off
	global_load_dwordx2 v[122:123], v153, s[12:13] offset:3600
	v_add_co_u32_e32 v2, vcc, s14, v2
	v_addc_co_u32_e32 v3, vcc, v3, v32, vcc
	global_load_dwordx2 v[26:27], v[2:3], off
	global_load_dwordx2 v[120:121], v[0:1], off offset:1808
	v_add_co_u32_e32 v2, vcc, s16, v2
	v_addc_co_u32_e32 v3, vcc, v3, v28, vcc
	global_load_dwordx2 v[28:29], v[2:3], off
	global_load_dwordx2 v[118:119], v153, s[12:13] offset:1728
	v_add_co_u32_e32 v2, vcc, s14, v2
	v_addc_co_u32_e32 v3, vcc, v3, v32, vcc
	global_load_dwordx2 v[30:31], v[2:3], off
	global_load_dwordx2 v[116:117], v153, s[12:13] offset:4032
	v_add_co_u32_e32 v2, vcc, s14, v2
	v_addc_co_u32_e32 v3, vcc, v3, v32, vcc
	global_load_dwordx2 v[32:33], v[2:3], off
	global_load_dwordx2 v[114:115], v[0:1], off offset:2240
	s_load_dwordx2 s[6:7], s[4:5], 0x38
	s_load_dwordx4 s[8:11], s[2:3], 0x0
	v_cmp_gt_u16_e64 s[0:1], 18, v155
	s_waitcnt vmcnt(24)
	v_mul_f32_e32 v34, v7, v144
	v_fmac_f32_e32 v34, v6, v143
	v_mul_f32_e32 v6, v6, v144
	v_fma_f32 v35, v7, v143, -v6
	s_waitcnt vmcnt(22)
	v_mul_f32_e32 v6, v9, v142
	v_mul_f32_e32 v7, v8, v142
	v_fmac_f32_e32 v6, v8, v141
	v_fma_f32 v7, v9, v141, -v7
	ds_write_b64 v153, v[6:7] offset:2304
	v_mul_f32_e32 v6, v11, v140
	v_mul_f32_e32 v7, v10, v140
	v_fmac_f32_e32 v6, v10, v139
	v_fma_f32 v7, v11, v139, -v7
	ds_write_b64 v153, v[6:7] offset:4608
	v_mul_f32_e32 v6, v5, v138
	v_fmac_f32_e32 v6, v4, v137
	v_mul_f32_e32 v4, v4, v138
	v_fma_f32 v7, v5, v137, -v4
	s_waitcnt vmcnt(20)
	v_mul_f32_e32 v4, v13, v136
	v_fmac_f32_e32 v4, v12, v135
	v_mul_f32_e32 v5, v12, v136
	v_fma_f32 v5, v13, v135, -v5
	s_waitcnt vmcnt(16)
	v_mul_f32_e32 v8, v16, v131
	v_fma_f32 v11, v17, v130, -v8
	ds_write2_b64 v153, v[34:35], v[6:7] offset1:54
	v_mul_f32_e32 v6, v15, v133
	v_mul_f32_e32 v7, v14, v133
	s_waitcnt vmcnt(14)
	v_mul_f32_e32 v12, v19, v129
	v_mul_f32_e32 v8, v18, v129
	v_fmac_f32_e32 v12, v18, v128
	v_fma_f32 v13, v19, v128, -v8
	v_add_u32_e32 v8, 0x800, v153
	ds_write2_b64 v8, v[4:5], v[12:13] offset0:86 offset1:140
	s_waitcnt vmcnt(12)
	v_mul_f32_e32 v4, v21, v127
	v_mul_f32_e32 v5, v20, v127
	v_fmac_f32_e32 v6, v14, v132
	v_fma_f32 v7, v15, v132, -v7
	v_fmac_f32_e32 v4, v20, v126
	v_fma_f32 v5, v21, v126, -v5
	v_add_u32_e32 v9, 0x1000, v153
	v_mul_f32_e32 v10, v17, v131
	ds_write2_b64 v9, v[6:7], v[4:5] offset0:118 offset1:172
	s_waitcnt vmcnt(10)
	v_mul_f32_e32 v4, v23, v125
	v_mul_f32_e32 v5, v22, v125
	v_fmac_f32_e32 v10, v16, v130
	v_fmac_f32_e32 v4, v22, v124
	v_fma_f32 v5, v23, v124, -v5
	ds_write2_b64 v153, v[10:11], v[4:5] offset0:108 offset1:162
	s_waitcnt vmcnt(8)
	v_mul_f32_e32 v4, v25, v123
	v_mul_f32_e32 v5, v24, v123
	v_fmac_f32_e32 v4, v24, v122
	v_fma_f32 v5, v25, v122, -v5
	s_waitcnt vmcnt(4)
	v_mul_f32_e32 v10, v29, v119
	v_mul_f32_e32 v11, v28, v119
	v_fmac_f32_e32 v10, v28, v118
	v_fma_f32 v11, v29, v118, -v11
	ds_write_b64 v153, v[10:11] offset:1728
	s_waitcnt vmcnt(2)
	v_mul_f32_e32 v10, v31, v117
	v_mul_f32_e32 v11, v30, v117
	v_fmac_f32_e32 v10, v30, v116
	v_fma_f32 v11, v31, v116, -v11
	v_mul_f32_e32 v6, v27, v121
	v_mul_f32_e32 v7, v26, v121
	ds_write2_b64 v8, v[4:5], v[10:11] offset0:194 offset1:248
	s_waitcnt vmcnt(0)
	v_mul_f32_e32 v4, v33, v115
	v_mul_f32_e32 v5, v32, v115
	v_fmac_f32_e32 v6, v26, v120
	v_fma_f32 v7, v27, v120, -v7
	v_fmac_f32_e32 v4, v32, v114
	v_fma_f32 v5, v33, v114, -v5
	v_add_u32_e32 v10, 0x1400, v153
	ds_write2_b64 v10, v[6:7], v[4:5] offset0:98 offset1:152
	s_and_saveexec_b64 s[2:3], s[0:1]
	s_cbranch_execz .LBB0_3
; %bb.2:
	v_mov_b32_e32 v4, s17
	v_add_co_u32_e32 v2, vcc, s16, v2
	v_addc_co_u32_e32 v3, vcc, v3, v4, vcc
	global_load_dwordx2 v[4:5], v[2:3], off
	global_load_dwordx2 v[6:7], v[112:113], off offset:2160
	v_mov_b32_e32 v14, s15
	v_add_co_u32_e32 v2, vcc, s14, v2
	v_addc_co_u32_e32 v3, vcc, v3, v14, vcc
	global_load_dwordx2 v[10:11], v[2:3], off
	global_load_dwordx2 v[12:13], v[0:1], off offset:368
	v_add_co_u32_e32 v2, vcc, s14, v2
	v_addc_co_u32_e32 v3, vcc, v3, v14, vcc
	global_load_dwordx2 v[14:15], v[0:1], off offset:2672
	global_load_dwordx2 v[16:17], v[2:3], off
	s_waitcnt vmcnt(4)
	v_mul_f32_e32 v0, v5, v7
	v_mul_f32_e32 v1, v4, v7
	v_fmac_f32_e32 v0, v4, v6
	v_fma_f32 v1, v5, v6, -v1
	ds_write_b64 v153, v[0:1] offset:2160
	s_waitcnt vmcnt(2)
	v_mul_f32_e32 v2, v11, v13
	v_mul_f32_e32 v3, v10, v13
	v_fmac_f32_e32 v2, v10, v12
	v_fma_f32 v3, v11, v12, -v3
	ds_write_b64 v153, v[2:3] offset:4464
	;; [unrolled: 6-line block ×3, first 2 shown]
.LBB0_3:
	s_or_b64 exec, exec, s[2:3]
	v_add_u32_e32 v0, 0x400, v153
	s_waitcnt lgkmcnt(0)
	; wave barrier
	s_waitcnt lgkmcnt(0)
	ds_read2_b64 v[4:7], v153 offset1:54
	ds_read2_b64 v[28:31], v0 offset0:88 offset1:160
	ds_read2_b64 v[20:23], v9 offset0:64 offset1:118
	;; [unrolled: 1-line block ×6, first 2 shown]
	ds_read_b64 v[32:33], v153 offset:6336
                                        ; implicit-def: $vgpr34
                                        ; implicit-def: $vgpr36
                                        ; implicit-def: $vgpr38
	s_and_saveexec_b64 s[2:3], s[0:1]
	s_cbranch_execz .LBB0_5
; %bb.4:
	ds_read_b64 v[34:35], v153 offset:2160
	ds_read_b64 v[36:37], v153 offset:4464
	;; [unrolled: 1-line block ×3, first 2 shown]
.LBB0_5:
	s_or_b64 exec, exec, s[2:3]
	s_waitcnt lgkmcnt(6)
	v_add_f32_e32 v24, v4, v30
	s_waitcnt lgkmcnt(5)
	v_add_f32_e32 v40, v24, v20
	v_add_f32_e32 v24, v30, v20
	v_fma_f32 v4, -0.5, v24, v4
	v_sub_f32_e32 v24, v31, v21
	v_mov_b32_e32 v42, v4
	v_fmac_f32_e32 v42, 0x3f5db3d7, v24
	v_fmac_f32_e32 v4, 0xbf5db3d7, v24
	v_add_f32_e32 v24, v5, v31
	v_add_f32_e32 v41, v24, v21
	;; [unrolled: 1-line block ×3, first 2 shown]
	v_fma_f32 v5, -0.5, v21, v5
	v_sub_f32_e32 v20, v30, v20
	v_mov_b32_e32 v43, v5
	s_waitcnt lgkmcnt(4)
	v_add_f32_e32 v21, v16, v22
	v_fmac_f32_e32 v43, 0xbf5db3d7, v20
	v_fmac_f32_e32 v5, 0x3f5db3d7, v20
	v_add_f32_e32 v20, v6, v16
	v_fma_f32 v6, -0.5, v21, v6
	v_sub_f32_e32 v21, v17, v23
	v_mov_b32_e32 v44, v6
	v_fmac_f32_e32 v44, 0x3f5db3d7, v21
	v_fmac_f32_e32 v6, 0xbf5db3d7, v21
	v_add_f32_e32 v21, v7, v17
	v_add_f32_e32 v17, v17, v23
	v_fmac_f32_e32 v7, -0.5, v17
	v_sub_f32_e32 v16, v16, v22
	v_mov_b32_e32 v45, v7
	s_waitcnt lgkmcnt(2)
	v_add_f32_e32 v17, v18, v12
	v_fmac_f32_e32 v45, 0xbf5db3d7, v16
	v_fmac_f32_e32 v7, 0x3f5db3d7, v16
	v_add_f32_e32 v16, v0, v18
	v_fma_f32 v0, -0.5, v17, v0
	v_add_f32_e32 v20, v20, v22
	v_sub_f32_e32 v17, v19, v13
	v_mov_b32_e32 v22, v0
	v_fmac_f32_e32 v22, 0x3f5db3d7, v17
	v_fmac_f32_e32 v0, 0xbf5db3d7, v17
	v_add_f32_e32 v17, v1, v19
	v_add_f32_e32 v17, v17, v13
	;; [unrolled: 1-line block ×3, first 2 shown]
	v_fma_f32 v1, -0.5, v13, v1
	v_add_f32_e32 v21, v21, v23
	v_add_f32_e32 v16, v16, v12
	v_sub_f32_e32 v12, v18, v12
	v_mov_b32_e32 v23, v1
	s_waitcnt lgkmcnt(1)
	v_add_f32_e32 v13, v8, v14
	v_fmac_f32_e32 v23, 0xbf5db3d7, v12
	v_fmac_f32_e32 v1, 0x3f5db3d7, v12
	v_add_f32_e32 v12, v2, v8
	v_fma_f32 v2, -0.5, v13, v2
	v_sub_f32_e32 v13, v9, v15
	v_mov_b32_e32 v18, v2
	v_fmac_f32_e32 v18, 0x3f5db3d7, v13
	v_fmac_f32_e32 v2, 0xbf5db3d7, v13
	v_add_f32_e32 v13, v3, v9
	v_add_f32_e32 v9, v9, v15
	v_fmac_f32_e32 v3, -0.5, v9
	v_sub_f32_e32 v8, v8, v14
	v_mov_b32_e32 v19, v3
	v_fmac_f32_e32 v19, 0xbf5db3d7, v8
	v_fmac_f32_e32 v3, 0x3f5db3d7, v8
	v_add_f32_e32 v8, v28, v10
	s_waitcnt lgkmcnt(0)
	v_add_f32_e32 v24, v8, v32
	v_add_f32_e32 v8, v10, v32
	v_fma_f32 v28, -0.5, v8, v28
	v_sub_f32_e32 v8, v11, v33
	v_mov_b32_e32 v26, v28
	v_fmac_f32_e32 v26, 0x3f5db3d7, v8
	v_fmac_f32_e32 v28, 0xbf5db3d7, v8
	v_add_f32_e32 v8, v29, v11
	v_add_f32_e32 v25, v8, v33
	v_add_f32_e32 v8, v11, v33
	v_fmac_f32_e32 v29, -0.5, v8
	v_sub_f32_e32 v8, v10, v32
	v_mov_b32_e32 v27, v29
	v_fmac_f32_e32 v27, 0xbf5db3d7, v8
	v_fmac_f32_e32 v29, 0x3f5db3d7, v8
	v_add_f32_e32 v8, v34, v36
	v_add_f32_e32 v30, v8, v38
	v_add_f32_e32 v8, v36, v38
	v_fmac_f32_e32 v34, -0.5, v8
	;; [unrolled: 8-line block ×3, first 2 shown]
	v_sub_f32_e32 v8, v36, v38
	v_mov_b32_e32 v33, v35
	v_fmac_f32_e32 v33, 0xbf5db3d7, v8
	v_fmac_f32_e32 v35, 0x3f5db3d7, v8
	v_mul_lo_u16_e32 v8, 3, v155
	v_add_co_u32_e32 v60, vcc, 54, v155
	v_lshlrev_b32_e32 v158, 3, v8
	v_add_co_u32_e32 v64, vcc, 0x6c, v155
	s_waitcnt lgkmcnt(0)
	; wave barrier
	ds_write2_b64 v158, v[40:41], v[42:43] offset1:1
	ds_write_b64 v158, v[4:5] offset:16
	v_mul_u32_u24_e32 v4, 3, v60
	s_load_dwordx2 s[4:5], s[4:5], 0x8
	s_movk_i32 s2, 0xa2
	v_lshlrev_b32_e32 v159, 3, v4
	v_mul_u32_u24_e32 v4, 3, v64
	v_add_co_u32_e32 v68, vcc, s2, v155
	s_movk_i32 s2, 0xd8
	v_lshlrev_b32_e32 v160, 3, v4
	v_add_co_u32_e32 v72, vcc, s2, v155
	s_movk_i32 s2, 0x10e
	ds_write2_b64 v159, v[20:21], v[44:45] offset1:1
	ds_write_b64 v159, v[6:7] offset:16
	ds_write2_b64 v160, v[16:17], v[22:23] offset1:1
	ds_write_b64 v160, v[0:1] offset:16
	v_mul_u32_u24_e32 v0, 3, v68
	v_add_co_u32_e32 v168, vcc, s2, v155
	v_lshlrev_b32_e32 v161, 3, v0
	v_mul_u32_u24_e32 v0, 3, v72
	v_addc_co_u32_e64 v169, s[2:3], 0, 0, vcc
	v_add_f32_e32 v12, v12, v14
	v_add_f32_e32 v13, v13, v15
	v_lshlrev_b32_e32 v162, 3, v0
	v_mul_u32_u24_e32 v163, 3, v168
	ds_write2_b64 v161, v[12:13], v[18:19] offset1:1
	ds_write_b64 v161, v[2:3] offset:16
	ds_write2_b64 v162, v[24:25], v[26:27] offset1:1
	ds_write_b64 v162, v[28:29] offset:16
	s_and_saveexec_b64 s[2:3], s[0:1]
	s_cbranch_execz .LBB0_7
; %bb.6:
	v_lshlrev_b32_e32 v0, 3, v163
	ds_write2_b64 v0, v[30:31], v[32:33] offset1:1
	ds_write_b64 v0, v[34:35] offset:16
.LBB0_7:
	s_or_b64 exec, exec, s[2:3]
	v_add_u32_e32 v0, 0x800, v153
	s_waitcnt lgkmcnt(0)
	; wave barrier
	s_waitcnt lgkmcnt(0)
	ds_read2_b64 v[36:39], v153 offset1:54
	ds_read2_b64 v[40:43], v153 offset0:144 offset1:198
	ds_read2_b64 v[44:47], v0 offset0:32 offset1:86
	;; [unrolled: 1-line block ×3, first 2 shown]
	v_add_u32_e32 v0, 0x1000, v153
	ds_read2_b64 v[52:55], v0 offset0:64 offset1:118
	v_add_u32_e32 v0, 0x1400, v153
	ds_read2_b64 v[56:59], v0 offset0:80 offset1:134
	v_cmp_gt_u16_e32 vcc, 36, v155
	s_and_saveexec_b64 s[2:3], vcc
	s_cbranch_execz .LBB0_9
; %bb.8:
	v_add_u32_e32 v1, 0xc00, v153
	ds_read2_b64 v[32:35], v0 offset0:44 offset1:188
	ds_read2_b64 v[28:31], v1 offset0:12 offset1:156
	ds_read2_b64 v[24:27], v153 offset0:108 offset1:252
.LBB0_9:
	s_or_b64 exec, exec, s[2:3]
	s_movk_i32 s14, 0xab
	v_mul_lo_u16_sdwa v0, v155, s14 dst_sel:DWORD dst_unused:UNUSED_PAD src0_sel:BYTE_0 src1_sel:DWORD
	v_mul_lo_u16_sdwa v2, v60, s14 dst_sel:DWORD dst_unused:UNUSED_PAD src0_sel:BYTE_0 src1_sel:DWORD
	v_lshrrev_b16_e32 v67, 9, v0
	v_lshrrev_b16_e32 v75, 9, v2
	v_mul_lo_u16_e32 v0, 3, v67
	v_mul_lo_u16_e32 v2, 3, v75
	v_sub_u16_e32 v0, v155, v0
	v_sub_u16_e32 v2, v60, v2
	v_and_b32_e32 v71, 0xff, v0
	v_and_b32_e32 v76, 0xff, v2
	v_mad_u64_u32 v[0:1], s[2:3], v71, 40, s[4:5]
	v_mad_u64_u32 v[61:62], s[2:3], v76, 40, s[4:5]
	v_mul_lo_u16_sdwa v2, v64, s14 dst_sel:DWORD dst_unused:UNUSED_PAD src0_sel:BYTE_0 src1_sel:DWORD
	v_lshrrev_b16_e32 v77, 9, v2
	global_load_dwordx4 v[4:7], v[0:1], off offset:16
	global_load_dwordx4 v[12:15], v[0:1], off
	global_load_dwordx2 v[149:150], v[0:1], off offset:32
	global_load_dwordx4 v[20:23], v[61:62], off
	v_mul_lo_u16_e32 v0, 3, v77
	v_sub_u16_e32 v0, v64, v0
	v_and_b32_e32 v156, 0xff, v0
	v_mad_u64_u32 v[65:66], s[2:3], v156, 40, s[4:5]
	global_load_dwordx4 v[16:19], v[61:62], off offset:16
	global_load_dwordx2 v[147:148], v[61:62], off offset:32
	global_load_dwordx4 v[8:11], v[65:66], off
	global_load_dwordx4 v[0:3], v[65:66], off offset:16
	global_load_dwordx2 v[145:146], v[65:66], off offset:32
	v_mul_u32_u24_e32 v164, 18, v77
	s_waitcnt lgkmcnt(0)
	; wave barrier
	s_waitcnt vmcnt(8) lgkmcnt(0)
	v_mul_f32_e32 v80, v53, v7
	s_waitcnt vmcnt(7)
	v_mul_f32_e32 v69, v41, v13
	v_mul_f32_e32 v73, v45, v15
	;; [unrolled: 1-line block ×5, first 2 shown]
	v_fma_f32 v69, v40, v12, -v69
	v_fma_f32 v40, v44, v14, -v73
	s_waitcnt vmcnt(2)
	v_mul_f32_e32 v62, v28, v11
	s_waitcnt vmcnt(1)
	v_mul_f32_e32 v97, v33, v3
	v_fma_f32 v44, v52, v6, -v80
	v_mul_f32_e32 v95, v29, v11
	v_mul_f32_e32 v65, v32, v3
	s_waitcnt vmcnt(0)
	v_mul_f32_e32 v66, v34, v146
	v_fmac_f32_e32 v74, v45, v14
	v_fmac_f32_e32 v81, v53, v6
	;; [unrolled: 1-line block ×3, first 2 shown]
	v_fma_f32 v29, v32, v2, -v97
	v_add_f32_e32 v32, v40, v44
	v_mul_f32_e32 v78, v49, v5
	v_mul_f32_e32 v82, v57, v150
	;; [unrolled: 1-line block ×5, first 2 shown]
	v_fmac_f32_e32 v66, v35, v145
	v_fma_f32 v32, -0.5, v32, v36
	v_add_f32_e32 v35, v74, v81
	v_mul_f32_e32 v94, v27, v9
	v_mul_f32_e32 v63, v30, v1
	v_fmac_f32_e32 v70, v41, v12
	v_fma_f32 v41, v48, v4, -v78
	v_fma_f32 v45, v56, v149, -v82
	v_fmac_f32_e32 v61, v27, v8
	v_fma_f32 v27, v28, v10, -v95
	v_fma_f32 v28, v30, v0, -v96
	v_fmac_f32_e32 v65, v33, v2
	v_fma_f32 v30, v34, v145, -v98
	v_sub_f32_e32 v33, v74, v81
	v_mov_b32_e32 v34, v32
	v_fma_f32 v35, -0.5, v35, v37
	v_mul_f32_e32 v79, v48, v5
	v_mul_f32_e32 v83, v56, v150
	v_fmac_f32_e32 v63, v31, v0
	v_add_f32_e32 v31, v36, v40
	v_fmac_f32_e32 v34, 0x3f5db3d7, v33
	v_fmac_f32_e32 v32, 0xbf5db3d7, v33
	v_add_f32_e32 v33, v37, v74
	v_sub_f32_e32 v36, v40, v44
	v_mov_b32_e32 v37, v35
	v_add_f32_e32 v40, v41, v45
	v_mul_f32_e32 v85, v42, v21
	v_fmac_f32_e32 v79, v49, v4
	v_fmac_f32_e32 v83, v57, v149
	v_fmac_f32_e32 v37, 0xbf5db3d7, v36
	v_fmac_f32_e32 v35, 0x3f5db3d7, v36
	v_add_f32_e32 v36, v69, v41
	v_fmac_f32_e32 v69, -0.5, v40
	v_mul_f32_e32 v84, v43, v21
	v_fmac_f32_e32 v85, v43, v20
	v_sub_f32_e32 v40, v79, v83
	v_mov_b32_e32 v43, v69
	v_mul_f32_e32 v87, v46, v23
	v_fmac_f32_e32 v43, 0x3f5db3d7, v40
	v_fmac_f32_e32 v69, 0xbf5db3d7, v40
	v_add_f32_e32 v40, v70, v79
	v_mul_f32_e32 v86, v47, v23
	v_fmac_f32_e32 v87, v47, v22
	v_add_f32_e32 v47, v40, v83
	v_add_f32_e32 v40, v79, v83
	v_fmac_f32_e32 v70, -0.5, v40
	v_sub_f32_e32 v40, v41, v45
	v_mul_f32_e32 v90, v55, v19
	v_add_f32_e32 v36, v36, v45
	v_mov_b32_e32 v45, v70
	v_fmac_f32_e32 v70, 0x3f5db3d7, v40
	v_mul_f32_e32 v49, -0.5, v69
	v_mul_f32_e32 v88, v51, v17
	v_mul_f32_e32 v89, v50, v17
	;; [unrolled: 1-line block ×3, first 2 shown]
	v_fma_f32 v52, v46, v22, -v86
	v_fma_f32 v54, v54, v18, -v90
	v_fmac_f32_e32 v45, 0xbf5db3d7, v40
	v_fmac_f32_e32 v49, 0x3f5db3d7, v70
	v_fma_f32 v53, v50, v16, -v88
	v_fmac_f32_e32 v89, v51, v16
	v_add_f32_e32 v31, v31, v44
	v_mul_f32_e32 v48, 0x3f5db3d7, v45
	v_add_f32_e32 v44, v32, v49
	v_mul_f32_e32 v51, 0xbf5db3d7, v43
	v_mul_f32_e32 v56, -0.5, v70
	v_sub_f32_e32 v50, v32, v49
	v_add_f32_e32 v32, v52, v54
	v_fmac_f32_e32 v91, v55, v18
	v_add_f32_e32 v33, v33, v81
	v_fmac_f32_e32 v48, 0.5, v43
	v_fmac_f32_e32 v51, 0.5, v45
	v_fmac_f32_e32 v56, 0xbf5db3d7, v69
	v_fma_f32 v32, -0.5, v32, v38
	v_mul_f32_e32 v92, v59, v148
	v_fma_f32 v57, v42, v20, -v84
	v_add_f32_e32 v42, v34, v48
	v_add_f32_e32 v41, v33, v47
	;; [unrolled: 1-line block ×4, first 2 shown]
	v_sub_f32_e32 v48, v34, v48
	v_sub_f32_e32 v47, v33, v47
	;; [unrolled: 1-line block ×5, first 2 shown]
	v_mov_b32_e32 v34, v32
	v_add_f32_e32 v35, v87, v91
	v_fma_f32 v55, v58, v147, -v92
	v_fmac_f32_e32 v34, 0x3f5db3d7, v33
	v_fmac_f32_e32 v32, 0xbf5db3d7, v33
	v_add_f32_e32 v33, v39, v87
	v_fmac_f32_e32 v39, -0.5, v35
	v_mul_f32_e32 v93, v58, v148
	v_add_f32_e32 v40, v31, v36
	v_sub_f32_e32 v46, v31, v36
	v_sub_f32_e32 v35, v52, v54
	v_mov_b32_e32 v36, v39
	v_add_f32_e32 v37, v53, v55
	v_fmac_f32_e32 v93, v59, v147
	v_fmac_f32_e32 v36, 0xbf5db3d7, v35
	v_fmac_f32_e32 v39, 0x3f5db3d7, v35
	v_add_f32_e32 v35, v57, v53
	v_fmac_f32_e32 v57, -0.5, v37
	v_add_f32_e32 v31, v38, v52
	v_sub_f32_e32 v37, v89, v93
	v_mov_b32_e32 v38, v57
	v_add_f32_e32 v52, v89, v93
	v_fmac_f32_e32 v38, 0x3f5db3d7, v37
	v_fmac_f32_e32 v57, 0xbf5db3d7, v37
	v_add_f32_e32 v37, v85, v89
	v_fmac_f32_e32 v85, -0.5, v52
	v_add_f32_e32 v35, v35, v55
	v_sub_f32_e32 v52, v53, v55
	v_mov_b32_e32 v55, v85
	v_add_f32_e32 v31, v31, v54
	v_fmac_f32_e32 v55, 0xbf5db3d7, v52
	v_fmac_f32_e32 v85, 0x3f5db3d7, v52
	v_add_f32_e32 v52, v31, v35
	v_mul_f32_e32 v59, 0x3f5db3d7, v55
	v_mul_f32_e32 v70, -0.5, v57
	v_sub_f32_e32 v58, v31, v35
	v_add_f32_e32 v31, v27, v29
	v_add_f32_e32 v33, v33, v91
	;; [unrolled: 1-line block ×3, first 2 shown]
	v_fmac_f32_e32 v59, 0.5, v38
	v_fmac_f32_e32 v70, 0x3f5db3d7, v85
	v_fma_f32 v31, -0.5, v31, v24
	v_add_f32_e32 v54, v34, v59
	v_add_f32_e32 v56, v32, v70
	v_add_f32_e32 v53, v33, v37
	v_sub_f32_e32 v69, v34, v59
	v_sub_f32_e32 v73, v32, v70
	;; [unrolled: 1-line block ×4, first 2 shown]
	v_mov_b32_e32 v32, v31
	v_fmac_f32_e32 v32, 0x3f5db3d7, v33
	v_fmac_f32_e32 v31, 0xbf5db3d7, v33
	v_add_f32_e32 v33, v62, v65
	v_fma_f32 v33, -0.5, v33, v25
	v_mul_f32_e32 v74, -0.5, v85
	v_sub_f32_e32 v35, v27, v29
	v_mov_b32_e32 v34, v33
	v_fma_f32 v26, v26, v8, -v94
	v_fmac_f32_e32 v74, 0xbf5db3d7, v57
	v_fmac_f32_e32 v34, 0xbf5db3d7, v35
	;; [unrolled: 1-line block ×3, first 2 shown]
	v_add_f32_e32 v35, v28, v30
	v_add_f32_e32 v57, v39, v74
	v_sub_f32_e32 v74, v39, v74
	v_fma_f32 v39, -0.5, v35, v26
	v_mul_f32_e32 v38, 0xbf5db3d7, v38
	v_sub_f32_e32 v35, v63, v66
	v_mov_b32_e32 v37, v39
	v_fmac_f32_e32 v38, 0.5, v55
	v_fmac_f32_e32 v37, 0x3f5db3d7, v35
	v_fmac_f32_e32 v39, 0xbf5db3d7, v35
	v_add_f32_e32 v35, v63, v66
	v_add_f32_e32 v55, v36, v38
	v_sub_f32_e32 v70, v36, v38
	v_fma_f32 v38, -0.5, v35, v61
	v_sub_f32_e32 v35, v28, v30
	v_mov_b32_e32 v78, v38
	v_fmac_f32_e32 v78, 0xbf5db3d7, v35
	v_fmac_f32_e32 v38, 0x3f5db3d7, v35
	v_mul_f32_e32 v36, -0.5, v39
	v_mul_f32_e32 v35, 0x3f5db3d7, v78
	v_fmac_f32_e32 v36, 0x3f5db3d7, v38
	v_mul_f32_e32 v38, -0.5, v38
	v_fmac_f32_e32 v35, 0.5, v37
	v_mul_f32_e32 v37, 0xbf5db3d7, v37
	v_fmac_f32_e32 v38, 0xbf5db3d7, v39
	v_mul_u32_u24_e32 v39, 18, v67
	v_fmac_f32_e32 v37, 0.5, v78
	v_add_lshl_u32 v165, v39, v71, 3
	v_mul_u32_u24_e32 v39, 18, v75
	v_sub_f32_e32 v104, v32, v35
	v_sub_f32_e32 v106, v31, v36
	;; [unrolled: 1-line block ×4, first 2 shown]
	v_add_lshl_u32 v166, v39, v76, 3
	ds_write2_b64 v165, v[40:41], v[42:43] offset1:3
	ds_write2_b64 v165, v[44:45], v[46:47] offset0:6 offset1:9
	ds_write2_b64 v165, v[48:49], v[50:51] offset0:12 offset1:15
	ds_write2_b64 v166, v[52:53], v[54:55] offset1:3
	ds_write2_b64 v166, v[56:57], v[58:59] offset0:6 offset1:9
	ds_write2_b64 v166, v[69:70], v[73:74] offset0:12 offset1:15
	s_and_saveexec_b64 s[2:3], vcc
	s_cbranch_execz .LBB0_11
; %bb.10:
	v_add_f32_e32 v25, v25, v62
	v_add_f32_e32 v24, v24, v27
	;; [unrolled: 1-line block ×8, first 2 shown]
	v_sub_f32_e32 v24, v41, v30
	v_add_f32_e32 v27, v33, v38
	v_add_f32_e32 v29, v34, v37
	;; [unrolled: 1-line block ×5, first 2 shown]
	v_add_lshl_u32 v30, v164, v156, 3
	v_sub_f32_e32 v25, v39, v40
	v_add_f32_e32 v26, v31, v36
	ds_write2_b64 v30, v[32:33], v[28:29] offset1:3
	ds_write2_b64 v30, v[26:27], v[24:25] offset0:6 offset1:9
	ds_write2_b64 v30, v[104:105], v[106:107] offset0:12 offset1:15
.LBB0_11:
	s_or_b64 exec, exec, s[2:3]
	v_mov_b32_e32 v24, 57
	v_mul_lo_u16_sdwa v24, v155, v24 dst_sel:DWORD dst_unused:UNUSED_PAD src0_sel:BYTE_0 src1_sel:DWORD
	v_lshrrev_b16_e32 v63, 10, v24
	v_mul_lo_u16_e32 v24, 18, v63
	v_sub_u16_e32 v24, v155, v24
	v_and_b32_e32 v67, 0xff, v24
	v_mov_b32_e32 v25, s5
	s_movk_i32 s2, 0x78
	v_mov_b32_e32 v24, s4
	v_mad_u64_u32 v[24:25], s[2:3], v67, s2, v[24:25]
	s_waitcnt lgkmcnt(0)
	; wave barrier
	s_waitcnt lgkmcnt(0)
	global_load_dwordx4 v[48:51], v[24:25], off offset:120
	global_load_dwordx4 v[40:43], v[24:25], off offset:136
	;; [unrolled: 1-line block ×7, first 2 shown]
	global_load_dwordx2 v[151:152], v[24:25], off offset:232
	ds_read2_b64 v[24:27], v153 offset1:54
	ds_read2_b64 v[56:59], v153 offset0:108 offset1:162
	v_add_u32_e32 v71, 0x400, v153
	v_add_u32_e32 v171, 0x800, v153
	;; [unrolled: 1-line block ×4, first 2 shown]
	ds_read2_b64 v[73:76], v71 offset0:88 offset1:142
	ds_read2_b64 v[77:80], v171 offset0:68 offset1:122
	;; [unrolled: 1-line block ×6, first 2 shown]
	v_mul_u32_u24_e32 v63, 0x120, v63
	v_or_b32_e32 v63, v63, v67
	s_waitcnt lgkmcnt(0)
	; wave barrier
	s_waitcnt vmcnt(7) lgkmcnt(0)
	v_mul_f32_e32 v62, v26, v49
	v_mul_f32_e32 v65, v57, v51
	;; [unrolled: 1-line block ×3, first 2 shown]
	s_waitcnt vmcnt(6)
	v_mul_f32_e32 v69, v59, v41
	v_mul_f32_e32 v97, v74, v43
	;; [unrolled: 1-line block ×3, first 2 shown]
	s_waitcnt vmcnt(5)
	v_mul_f32_e32 v99, v76, v33
	s_waitcnt vmcnt(4)
	v_mul_f32_e32 v109, v82, v31
	v_mul_f32_e32 v110, v81, v31
	s_waitcnt vmcnt(2)
	v_mul_f32_e32 v177, v90, v47
	v_mul_f32_e32 v178, v89, v47
	;; [unrolled: 1-line block ×12, first 2 shown]
	s_waitcnt vmcnt(1)
	v_mul_f32_e32 v180, v91, v37
	v_mul_f32_e32 v181, v94, v39
	;; [unrolled: 1-line block ×3, first 2 shown]
	v_fmac_f32_e32 v62, v27, v48
	v_fma_f32 v27, v56, v50, -v65
	v_fmac_f32_e32 v66, v57, v50
	v_fma_f32 v56, v58, v40, -v69
	v_fma_f32 v57, v73, v42, -v97
	v_fmac_f32_e32 v98, v74, v42
	v_fma_f32 v58, v75, v32, -v99
	;; [unrolled: 3-line block ×3, first 2 shown]
	v_fmac_f32_e32 v178, v90, v46
	v_mul_f32_e32 v167, v83, v53
	v_mul_f32_e32 v175, v88, v45
	;; [unrolled: 1-line block ×3, first 2 shown]
	s_waitcnt vmcnt(0)
	v_mul_f32_e32 v184, v95, v152
	v_fma_f32 v26, v26, v48, -v61
	v_fmac_f32_e32 v70, v59, v40
	v_fmac_f32_e32 v100, v76, v32
	v_fma_f32 v59, v77, v34, -v101
	v_fmac_f32_e32 v102, v78, v34
	v_fma_f32 v61, v79, v28, -v103
	;; [unrolled: 2-line block ×3, first 2 shown]
	v_fma_f32 v73, v85, v54, -v173
	v_fmac_f32_e32 v174, v86, v54
	v_fmac_f32_e32 v180, v92, v36
	v_fma_f32 v77, v93, v38, -v181
	v_fmac_f32_e32 v182, v94, v38
	v_sub_f32_e32 v65, v24, v65
	v_sub_f32_e32 v79, v25, v110
	;; [unrolled: 1-line block ×4, first 2 shown]
	v_mul_f32_e32 v176, v87, v45
	v_mul_f32_e32 v183, v96, v152
	v_fmac_f32_e32 v167, v84, v52
	v_fma_f32 v74, v87, v44, -v175
	v_fma_f32 v76, v91, v36, -v179
	v_fmac_f32_e32 v184, v96, v151
	v_fma_f32 v57, v57, 2.0, -v75
	v_fma_f32 v81, v98, 2.0, -v80
	v_sub_f32_e32 v73, v27, v73
	v_sub_f32_e32 v82, v66, v174
	;; [unrolled: 1-line block ×7, first 2 shown]
	v_add_f32_e32 v75, v79, v75
	v_fmac_f32_e32 v176, v88, v44
	v_fma_f32 v78, v95, v151, -v183
	v_fma_f32 v24, v24, 2.0, -v65
	v_fma_f32 v59, v59, 2.0, -v77
	;; [unrolled: 1-line block ×3, first 2 shown]
	v_sub_f32_e32 v85, v62, v167
	v_sub_f32_e32 v76, v58, v76
	v_fma_f32 v87, v100, 2.0, -v86
	v_sub_f32_e32 v74, v56, v74
	v_sub_f32_e32 v89, v108, v184
	v_fma_f32 v65, v65, 2.0, -v80
	v_sub_f32_e32 v83, v73, v83
	v_add_f32_e32 v77, v82, v77
	v_sub_f32_e32 v86, v69, v86
	v_mov_b32_e32 v98, v75
	v_fma_f32 v25, v25, 2.0, -v79
	v_fma_f32 v27, v27, 2.0, -v73
	;; [unrolled: 1-line block ×5, first 2 shown]
	v_sub_f32_e32 v88, v70, v176
	v_sub_f32_e32 v78, v61, v78
	v_fma_f32 v90, v108, 2.0, -v89
	v_fma_f32 v79, v79, 2.0, -v75
	;; [unrolled: 1-line block ×3, first 2 shown]
	v_add_f32_e32 v76, v85, v76
	v_fma_f32 v69, v69, 2.0, -v86
	v_sub_f32_e32 v89, v74, v89
	v_mov_b32_e32 v93, v65
	v_mov_b32_e32 v97, v80
	v_fmac_f32_e32 v98, 0x3f3504f3, v77
	v_fma_f32 v62, v62, 2.0, -v85
	v_fma_f32 v56, v56, 2.0, -v74
	;; [unrolled: 1-line block ×4, first 2 shown]
	v_sub_f32_e32 v57, v24, v57
	v_sub_f32_e32 v84, v66, v84
	v_fma_f32 v82, v82, 2.0, -v77
	v_fma_f32 v85, v85, 2.0, -v76
	v_add_f32_e32 v78, v88, v78
	v_fma_f32 v74, v74, 2.0, -v89
	v_fmac_f32_e32 v93, 0xbf3504f3, v73
	v_mov_b32_e32 v94, v79
	v_fmac_f32_e32 v97, 0x3f3504f3, v83
	v_fmac_f32_e32 v98, 0x3f3504f3, v83
	v_mov_b32_e32 v83, v69
	v_sub_f32_e32 v81, v25, v81
	v_fma_f32 v66, v66, 2.0, -v84
	v_sub_f32_e32 v58, v26, v58
	v_sub_f32_e32 v87, v62, v87
	;; [unrolled: 1-line block ×4, first 2 shown]
	v_fma_f32 v88, v88, 2.0, -v78
	v_fmac_f32_e32 v94, 0xbf3504f3, v82
	v_fmac_f32_e32 v93, 0xbf3504f3, v82
	v_sub_f32_e32 v95, v57, v84
	v_fmac_f32_e32 v83, 0xbf3504f3, v74
	v_mov_b32_e32 v84, v85
	v_fma_f32 v25, v25, 2.0, -v81
	v_sub_f32_e32 v59, v27, v59
	v_fma_f32 v26, v26, 2.0, -v58
	v_fma_f32 v62, v62, 2.0, -v87
	;; [unrolled: 1-line block ×4, first 2 shown]
	v_fmac_f32_e32 v94, 0x3f3504f3, v73
	v_fma_f32 v65, v65, 2.0, -v93
	v_fmac_f32_e32 v97, 0xbf3504f3, v77
	v_fmac_f32_e32 v84, 0xbf3504f3, v88
	;; [unrolled: 1-line block ×3, first 2 shown]
	v_fma_f32 v27, v27, 2.0, -v59
	v_sub_f32_e32 v92, v25, v66
	v_fma_f32 v73, v79, 2.0, -v94
	v_add_f32_e32 v96, v81, v59
	v_fma_f32 v77, v80, 2.0, -v97
	v_sub_f32_e32 v80, v26, v56
	v_sub_f32_e32 v82, v62, v70
	v_fmac_f32_e32 v84, 0x3f3504f3, v74
	v_fma_f32 v59, v69, 2.0, -v83
	v_add_f32_e32 v88, v87, v61
	v_mov_b32_e32 v56, v65
	v_fma_f32 v24, v24, 2.0, -v57
	v_fma_f32 v66, v25, 2.0, -v92
	;; [unrolled: 1-line block ×7, first 2 shown]
	v_mov_b32_e32 v87, v86
	v_fmac_f32_e32 v56, 0xbf6c835e, v59
	v_mov_b32_e32 v57, v73
	v_sub_f32_e32 v85, v58, v90
	v_fmac_f32_e32 v87, 0x3f3504f3, v89
	v_mov_b32_e32 v90, v76
	v_fmac_f32_e32 v57, 0xbf6c835e, v62
	v_fmac_f32_e32 v56, 0xbec3ef15, v62
	v_mov_b32_e32 v62, v81
	v_fma_f32 v69, v58, 2.0, -v85
	v_fmac_f32_e32 v90, 0x3f3504f3, v78
	v_fmac_f32_e32 v87, 0xbf3504f3, v78
	v_mov_b32_e32 v61, v79
	v_fmac_f32_e32 v62, 0xbf3504f3, v70
	v_fma_f32 v75, v75, 2.0, -v98
	v_fmac_f32_e32 v90, 0x3f3504f3, v89
	v_fma_f32 v74, v86, 2.0, -v87
	v_fmac_f32_e32 v61, 0xbf3504f3, v69
	v_fmac_f32_e32 v62, 0x3f3504f3, v69
	v_mov_b32_e32 v69, v77
	v_sub_f32_e32 v91, v24, v27
	v_fma_f32 v76, v76, 2.0, -v90
	v_fmac_f32_e32 v61, 0xbf3504f3, v70
	v_fmac_f32_e32 v69, 0xbec3ef15, v74
	v_mov_b32_e32 v70, v75
	v_fma_f32 v27, v24, 2.0, -v91
	v_fma_f32 v24, v26, 2.0, -v80
	;; [unrolled: 1-line block ×4, first 2 shown]
	v_fmac_f32_e32 v70, 0xbec3ef15, v76
	v_fmac_f32_e32 v69, 0xbf6c835e, v76
	v_add_f32_e32 v76, v92, v80
	v_mov_b32_e32 v79, v93
	v_mov_b32_e32 v80, v94
	v_fmac_f32_e32 v79, 0x3ec3ef15, v83
	v_fmac_f32_e32 v80, 0x3ec3ef15, v84
	;; [unrolled: 1-line block ×4, first 2 shown]
	v_mov_b32_e32 v83, v95
	v_mov_b32_e32 v84, v96
	;; [unrolled: 1-line block ×4, first 2 shown]
	v_sub_f32_e32 v24, v27, v24
	v_sub_f32_e32 v25, v66, v25
	v_fmac_f32_e32 v57, 0x3ec3ef15, v59
	v_fmac_f32_e32 v70, 0x3f6c835e, v74
	;; [unrolled: 1-line block ×6, first 2 shown]
	v_fma_f32 v26, v27, 2.0, -v24
	v_fma_f32 v27, v66, 2.0, -v25
	;; [unrolled: 1-line block ×4, first 2 shown]
	v_sub_f32_e32 v75, v91, v82
	v_fmac_f32_e32 v83, 0xbf3504f3, v88
	v_fmac_f32_e32 v84, 0x3f3504f3, v85
	;; [unrolled: 1-line block ×4, first 2 shown]
	v_lshlrev_b32_e32 v167, 3, v63
	v_fma_f32 v66, v81, 2.0, -v62
	v_fma_f32 v73, v77, 2.0, -v69
	;; [unrolled: 1-line block ×10, first 2 shown]
	ds_write2_b64 v167, v[26:27], v[58:59] offset1:18
	ds_write2_b64 v167, v[65:66], v[73:74] offset0:36 offset1:54
	ds_write2_b64 v167, v[77:78], v[81:82] offset0:72 offset1:90
	;; [unrolled: 1-line block ×6, first 2 shown]
	v_add_u32_e32 v24, 0x400, v167
	ds_write2_b64 v24, v[83:84], v[108:109] offset0:124 offset1:142
	s_waitcnt lgkmcnt(0)
	; wave barrier
	s_waitcnt lgkmcnt(0)
	ds_read2_b64 v[84:87], v153 offset1:54
	ds_read2_b64 v[76:79], v71 offset0:88 offset1:160
	ds_read2_b64 v[88:91], v172 offset0:64 offset1:118
	ds_read2_b64 v[92:95], v171 offset0:86 offset1:140
	ds_read2_b64 v[80:83], v153 offset0:108 offset1:162
	ds_read2_b64 v[96:99], v172 offset0:172 offset1:226
	ds_read2_b64 v[100:103], v171 offset0:194 offset1:248
	ds_read_b64 v[110:111], v153 offset:6336
	s_and_saveexec_b64 s[2:3], s[0:1]
	s_cbranch_execz .LBB0_13
; %bb.12:
	ds_read_b64 v[108:109], v153 offset:2160
	ds_read_b64 v[104:105], v153 offset:4464
	;; [unrolled: 1-line block ×3, first 2 shown]
.LBB0_13:
	s_or_b64 exec, exec, s[2:3]
	v_lshlrev_b32_e32 v24, 4, v155
	global_load_dwordx4 v[56:59], v24, s[4:5] offset:2280
	v_lshlrev_b32_e32 v24, 4, v60
	global_load_dwordx4 v[60:63], v24, s[4:5] offset:2280
	;; [unrolled: 2-line block ×4, first 2 shown]
	v_lshlrev_b32_e32 v24, 4, v72
	s_movk_i32 s2, 0xffee
	global_load_dwordx4 v[72:75], v24, s[4:5] offset:2280
	v_add_co_u32_e64 v24, s[2:3], s2, v155
	v_addc_co_u32_e64 v25, s[2:3], 0, -1, s[2:3]
	v_cndmask_b32_e64 v25, v25, v169, s[0:1]
	v_cndmask_b32_e64 v24, v24, v168, s[0:1]
	v_lshlrev_b64 v[24:25], 4, v[24:25]
	v_mov_b32_e32 v26, s5
	v_add_co_u32_e64 v24, s[2:3], s4, v24
	v_addc_co_u32_e64 v25, s[2:3], v26, v25, s[2:3]
	global_load_dwordx4 v[24:27], v[24:25], off offset:2280
	s_waitcnt vmcnt(5) lgkmcnt(6)
	v_mul_f32_e32 v169, v78, v57
	s_waitcnt lgkmcnt(5)
	v_mul_f32_e32 v174, v88, v59
	v_mul_f32_e32 v168, v79, v57
	;; [unrolled: 1-line block ×3, first 2 shown]
	s_waitcnt vmcnt(4)
	v_mul_f32_e32 v178, v90, v63
	v_fmac_f32_e32 v169, v79, v56
	v_fmac_f32_e32 v174, v89, v58
	v_mul_f32_e32 v177, v91, v63
	v_fma_f32 v78, v78, v56, -v168
	v_fma_f32 v79, v88, v58, -v173
	v_fmac_f32_e32 v178, v91, v62
	v_add_f32_e32 v91, v169, v174
	s_waitcnt lgkmcnt(4)
	v_mul_f32_e32 v175, v93, v61
	v_fma_f32 v173, v90, v62, -v177
	v_add_f32_e32 v89, v78, v79
	v_add_f32_e32 v90, v85, v169
	v_fma_f32 v85, -0.5, v91, v85
	v_fma_f32 v168, v92, v60, -v175
	v_add_f32_e32 v88, v84, v78
	v_sub_f32_e32 v78, v78, v79
	v_fma_f32 v84, -0.5, v89, v84
	v_mov_b32_e32 v91, v85
	v_mul_f32_e32 v176, v92, v61
	v_sub_f32_e32 v92, v169, v174
	v_add_f32_e32 v89, v90, v174
	v_mov_b32_e32 v90, v84
	v_fmac_f32_e32 v85, 0x3f5db3d7, v78
	v_fmac_f32_e32 v91, 0xbf5db3d7, v78
	v_add_f32_e32 v78, v86, v168
	v_fmac_f32_e32 v84, 0xbf5db3d7, v92
	v_fmac_f32_e32 v90, 0x3f5db3d7, v92
	v_add_f32_e32 v92, v78, v173
	v_add_f32_e32 v78, v168, v173
	s_waitcnt vmcnt(3)
	v_mul_f32_e32 v179, v95, v65
	v_fmac_f32_e32 v176, v93, v60
	v_fma_f32 v86, -0.5, v78, v86
	v_mul_f32_e32 v180, v94, v65
	v_fma_f32 v175, v94, v64, -v179
	v_sub_f32_e32 v78, v176, v178
	v_mov_b32_e32 v94, v86
	s_waitcnt lgkmcnt(2)
	v_mul_f32_e32 v181, v97, v67
	s_waitcnt vmcnt(2)
	v_mul_f32_e32 v185, v99, v71
	s_waitcnt vmcnt(0) lgkmcnt(0)
	v_mul_f32_e32 v93, v107, v27
	v_fmac_f32_e32 v94, 0x3f5db3d7, v78
	v_fmac_f32_e32 v86, 0xbf5db3d7, v78
	v_add_f32_e32 v78, v87, v176
	v_fma_f32 v177, v96, v66, -v181
	v_fma_f32 v181, v98, v70, -v185
	;; [unrolled: 1-line block ×3, first 2 shown]
	v_add_f32_e32 v93, v78, v178
	v_add_f32_e32 v78, v176, v178
	v_fmac_f32_e32 v87, -0.5, v78
	v_fmac_f32_e32 v180, v95, v64
	v_sub_f32_e32 v78, v168, v173
	v_mov_b32_e32 v95, v87
	v_fmac_f32_e32 v95, 0xbf5db3d7, v78
	v_fmac_f32_e32 v87, 0x3f5db3d7, v78
	v_add_f32_e32 v78, v80, v175
	v_mul_f32_e32 v182, v96, v67
	v_add_f32_e32 v96, v78, v177
	v_add_f32_e32 v78, v175, v177
	v_fmac_f32_e32 v182, v97, v66
	v_fma_f32 v80, -0.5, v78, v80
	v_mul_f32_e32 v186, v98, v71
	v_sub_f32_e32 v78, v180, v182
	v_mov_b32_e32 v98, v80
	v_fmac_f32_e32 v98, 0x3f5db3d7, v78
	v_fmac_f32_e32 v80, 0xbf5db3d7, v78
	v_add_f32_e32 v78, v81, v180
	v_add_f32_e32 v97, v78, v182
	;; [unrolled: 1-line block ×3, first 2 shown]
	v_mul_f32_e32 v183, v101, v69
	v_fma_f32 v81, -0.5, v78, v81
	v_fma_f32 v179, v100, v68, -v183
	v_fmac_f32_e32 v186, v99, v70
	v_sub_f32_e32 v78, v175, v177
	v_mov_b32_e32 v99, v81
	v_fmac_f32_e32 v99, 0xbf5db3d7, v78
	v_fmac_f32_e32 v81, 0x3f5db3d7, v78
	v_add_f32_e32 v78, v82, v179
	v_mul_f32_e32 v184, v100, v69
	v_add_f32_e32 v100, v78, v181
	v_add_f32_e32 v78, v179, v181
	v_mul_f32_e32 v187, v103, v73
	v_fmac_f32_e32 v184, v101, v68
	v_fma_f32 v82, -0.5, v78, v82
	v_mul_f32_e32 v188, v102, v73
	v_fma_f32 v183, v102, v72, -v187
	v_sub_f32_e32 v78, v184, v186
	v_mov_b32_e32 v102, v82
	v_fmac_f32_e32 v102, 0x3f5db3d7, v78
	v_fmac_f32_e32 v82, 0xbf5db3d7, v78
	v_add_f32_e32 v78, v83, v184
	v_add_f32_e32 v101, v78, v186
	;; [unrolled: 1-line block ×3, first 2 shown]
	v_fmac_f32_e32 v83, -0.5, v78
	v_mul_f32_e32 v189, v111, v75
	v_fmac_f32_e32 v188, v103, v72
	v_sub_f32_e32 v78, v179, v181
	v_mov_b32_e32 v103, v83
	v_mul_f32_e32 v190, v110, v75
	v_fma_f32 v110, v110, v74, -v189
	v_add_f32_e32 v88, v88, v79
	v_mul_f32_e32 v79, v105, v25
	v_fmac_f32_e32 v103, 0xbf5db3d7, v78
	v_fmac_f32_e32 v83, 0x3f5db3d7, v78
	v_add_f32_e32 v78, v76, v183
	v_fmac_f32_e32 v190, v111, v74
	v_mul_f32_e32 v111, v104, v25
	v_fma_f32 v174, v104, v24, -v79
	v_add_f32_e32 v104, v78, v110
	v_add_f32_e32 v78, v183, v110
	v_fma_f32 v76, -0.5, v78, v76
	v_mul_f32_e32 v169, v106, v27
	v_sub_f32_e32 v78, v188, v190
	v_mov_b32_e32 v106, v76
	v_fmac_f32_e32 v106, 0x3f5db3d7, v78
	v_fmac_f32_e32 v76, 0xbf5db3d7, v78
	v_add_f32_e32 v78, v77, v188
	v_fmac_f32_e32 v111, v105, v24
	v_add_f32_e32 v105, v78, v190
	v_add_f32_e32 v78, v188, v190
	v_fmac_f32_e32 v77, -0.5, v78
	v_fmac_f32_e32 v169, v107, v26
	v_sub_f32_e32 v78, v183, v110
	v_mov_b32_e32 v107, v77
	v_add_f32_e32 v79, v174, v185
	v_fmac_f32_e32 v107, 0xbf5db3d7, v78
	v_fmac_f32_e32 v77, 0x3f5db3d7, v78
	v_add_f32_e32 v78, v108, v174
	v_fmac_f32_e32 v108, -0.5, v79
	v_sub_f32_e32 v79, v111, v169
	v_mov_b32_e32 v110, v108
	v_fmac_f32_e32 v110, 0x3f5db3d7, v79
	v_fmac_f32_e32 v108, 0xbf5db3d7, v79
	v_add_f32_e32 v79, v109, v111
	v_add_f32_e32 v111, v111, v169
	v_fmac_f32_e32 v109, -0.5, v111
	v_sub_f32_e32 v168, v174, v185
	v_mov_b32_e32 v111, v109
	v_add_f32_e32 v78, v78, v185
	v_add_f32_e32 v79, v79, v169
	v_fmac_f32_e32 v111, 0xbf5db3d7, v168
	v_fmac_f32_e32 v109, 0x3f5db3d7, v168
	ds_write_b64 v153, v[90:91] offset:2304
	ds_write_b64 v153, v[84:85] offset:4608
	ds_write2_b64 v153, v[88:89], v[92:93] offset1:54
	ds_write2_b64 v171, v[94:95], v[98:99] offset0:86 offset1:140
	ds_write2_b64 v172, v[86:87], v[80:81] offset0:118 offset1:172
	;; [unrolled: 1-line block ×3, first 2 shown]
	ds_write_b64 v153, v[104:105] offset:1728
	ds_write2_b64 v171, v[102:103], v[106:107] offset0:194 offset1:248
	ds_write2_b64 v170, v[82:83], v[76:77] offset0:98 offset1:152
	s_and_saveexec_b64 s[2:3], s[0:1]
	s_cbranch_execz .LBB0_15
; %bb.14:
	ds_write_b64 v153, v[78:79] offset:2160
	ds_write_b64 v153, v[110:111] offset:4464
	;; [unrolled: 1-line block ×3, first 2 shown]
.LBB0_15:
	s_or_b64 exec, exec, s[2:3]
	s_add_u32 s4, s12, 0x1b00
	s_addc_u32 s5, s13, 0
	v_lshlrev_b32_e32 v82, 3, v155
	s_waitcnt lgkmcnt(0)
	; wave barrier
	s_waitcnt lgkmcnt(0)
	global_load_dwordx2 v[88:89], v82, s[4:5]
	global_load_dwordx2 v[90:91], v82, s[4:5] offset:432
	v_mov_b32_e32 v76, s5
	v_add_co_u32_e64 v80, s[2:3], s4, v82
	s_movk_i32 s12, 0x1000
	global_load_dwordx2 v[105:106], v82, s[4:5] offset:864
	global_load_dwordx2 v[172:173], v157, s[4:5]
	global_load_dwordx2 v[174:175], v82, s[4:5] offset:2304
	global_load_dwordx2 v[176:177], v82, s[4:5] offset:2736
	v_addc_co_u32_e64 v81, s[2:3], 0, v76, s[2:3]
	v_add_co_u32_e64 v76, s[2:3], s12, v80
	v_addc_co_u32_e64 v77, s[2:3], 0, v81, s[2:3]
	global_load_dwordx2 v[178:179], v[76:77], off offset:944
	global_load_dwordx2 v[180:181], v82, s[4:5] offset:3168
	global_load_dwordx2 v[182:183], v[76:77], off offset:1376
	global_load_dwordx2 v[184:185], v82, s[4:5] offset:1296
	global_load_dwordx2 v[186:187], v82, s[4:5] offset:3600
	global_load_dwordx2 v[188:189], v[76:77], off offset:1808
	global_load_dwordx2 v[190:191], v82, s[4:5] offset:1728
	global_load_dwordx2 v[192:193], v82, s[4:5] offset:4032
	global_load_dwordx2 v[194:195], v[76:77], off offset:2240
	ds_read2_b64 v[84:87], v153 offset1:54
	v_add_u32_e32 v83, 0x400, v153
	v_add_u32_e32 v82, 0x1000, v153
	;; [unrolled: 1-line block ×3, first 2 shown]
	s_waitcnt vmcnt(14) lgkmcnt(0)
	v_mul_f32_e32 v93, v85, v89
	v_mul_f32_e32 v92, v84, v89
	s_waitcnt vmcnt(13)
	v_mul_f32_e32 v89, v87, v91
	v_mul_f32_e32 v197, v86, v91
	v_fma_f32 v91, v84, v88, -v93
	v_fmac_f32_e32 v92, v85, v88
	ds_write_b64 v153, v[91:92]
	v_fma_f32 v196, v86, v90, -v89
	v_fmac_f32_e32 v197, v87, v90
	ds_read2_b64 v[84:87], v83 offset0:88 offset1:160
	ds_read2_b64 v[88:91], v82 offset0:64 offset1:118
	;; [unrolled: 1-line block ×6, first 2 shown]
	s_waitcnt vmcnt(10) lgkmcnt(5)
	v_mul_f32_e32 v157, v87, v175
	v_mul_f32_e32 v107, v86, v175
	s_waitcnt lgkmcnt(4)
	v_mul_f32_e32 v198, v89, v173
	v_mul_f32_e32 v175, v88, v173
	s_waitcnt vmcnt(9) lgkmcnt(3)
	v_mul_f32_e32 v200, v93, v177
	v_mul_f32_e32 v173, v92, v177
	s_waitcnt vmcnt(8)
	v_mul_f32_e32 v201, v91, v179
	v_mul_f32_e32 v177, v90, v179
	s_waitcnt lgkmcnt(2)
	v_mul_f32_e32 v202, v98, v106
	v_mul_f32_e32 v179, v97, v106
	s_waitcnt vmcnt(7)
	v_mul_f32_e32 v203, v95, v181
	v_mul_f32_e32 v199, v94, v181
	s_waitcnt vmcnt(6) lgkmcnt(1)
	v_mul_f32_e32 v204, v102, v183
	v_mul_f32_e32 v181, v101, v183
	s_waitcnt vmcnt(5)
	v_mul_f32_e32 v205, v100, v185
	v_mul_f32_e32 v183, v99, v185
	s_waitcnt vmcnt(4) lgkmcnt(0)
	v_mul_f32_e32 v206, v169, v187
	v_mul_f32_e32 v185, v168, v187
	v_fma_f32 v106, v86, v174, -v157
	v_fmac_f32_e32 v107, v87, v174
	v_fma_f32 v174, v88, v172, -v198
	v_fmac_f32_e32 v175, v89, v172
	;; [unrolled: 2-line block ×3, first 2 shown]
	s_waitcnt vmcnt(2)
	v_mul_f32_e32 v86, v85, v191
	v_mul_f32_e32 v87, v84, v191
	v_fma_f32 v176, v90, v178, -v201
	v_fmac_f32_e32 v177, v91, v178
	v_fma_f32 v178, v97, v105, -v202
	v_fmac_f32_e32 v179, v98, v105
	;; [unrolled: 2-line block ×6, first 2 shown]
	ds_write2_b64 v96, v[106:107], v[172:173] offset0:32 offset1:86
	ds_write2_b64 v153, v[196:197], v[178:179] offset0:54 offset1:108
	;; [unrolled: 1-line block ×4, first 2 shown]
	v_fma_f32 v86, v84, v190, -v86
	v_fmac_f32_e32 v87, v85, v190
	ds_write2_b64 v153, v[182:183], v[86:87] offset0:162 offset1:216
	ds_read_b64 v[86:87], v153 offset:6336
	s_waitcnt vmcnt(1)
	v_mul_f32_e32 v84, v171, v193
	v_mul_f32_e32 v85, v170, v193
	v_fma_f32 v84, v170, v192, -v84
	v_fmac_f32_e32 v85, v171, v192
	v_add_u32_e32 v88, 0xc00, v153
	v_mul_f32_e32 v207, v104, v189
	v_mul_f32_e32 v187, v103, v189
	ds_write2_b64 v88, v[84:85], v[174:175] offset0:120 offset1:192
	s_waitcnt vmcnt(0) lgkmcnt(1)
	v_mul_f32_e32 v84, v87, v195
	v_mul_f32_e32 v85, v86, v195
	v_fma_f32 v186, v103, v188, -v207
	v_fmac_f32_e32 v187, v104, v188
	v_fma_f32 v84, v86, v194, -v84
	v_fmac_f32_e32 v85, v87, v194
	v_add_u32_e32 v86, 0x1400, v153
	ds_write2_b64 v86, v[186:187], v[84:85] offset0:98 offset1:152
	s_and_saveexec_b64 s[2:3], s[0:1]
	s_cbranch_execz .LBB0_17
; %bb.16:
	global_load_dwordx2 v[80:81], v[80:81], off offset:2160
	s_nop 0
	global_load_dwordx2 v[84:85], v[76:77], off offset:368
	s_nop 0
	global_load_dwordx2 v[76:77], v[76:77], off offset:2672
	ds_read_b64 v[86:87], v153 offset:2160
	ds_read_b64 v[88:89], v153 offset:4464
	;; [unrolled: 1-line block ×3, first 2 shown]
	s_waitcnt vmcnt(2) lgkmcnt(2)
	v_mul_f32_e32 v92, v87, v81
	v_mul_f32_e32 v93, v86, v81
	s_waitcnt vmcnt(1) lgkmcnt(1)
	v_mul_f32_e32 v94, v89, v85
	v_mul_f32_e32 v81, v88, v85
	;; [unrolled: 3-line block ×3, first 2 shown]
	v_fma_f32 v92, v86, v80, -v92
	v_fmac_f32_e32 v93, v87, v80
	v_fma_f32 v80, v88, v84, -v94
	v_fmac_f32_e32 v81, v89, v84
	;; [unrolled: 2-line block ×3, first 2 shown]
	ds_write_b64 v153, v[92:93] offset:2160
	ds_write_b64 v153, v[80:81] offset:4464
	;; [unrolled: 1-line block ×3, first 2 shown]
.LBB0_17:
	s_or_b64 exec, exec, s[2:3]
	s_waitcnt lgkmcnt(0)
	; wave barrier
	s_waitcnt lgkmcnt(0)
	ds_read2_b64 v[92:95], v153 offset1:54
	ds_read2_b64 v[84:87], v83 offset0:88 offset1:160
	ds_read2_b64 v[104:107], v82 offset0:64 offset1:118
	;; [unrolled: 1-line block ×6, first 2 shown]
	ds_read_b64 v[76:77], v153 offset:6336
	s_and_saveexec_b64 s[2:3], s[0:1]
	s_cbranch_execz .LBB0_19
; %bb.18:
	ds_read_b64 v[78:79], v153 offset:2160
	ds_read_b64 v[110:111], v153 offset:4464
	;; [unrolled: 1-line block ×3, first 2 shown]
.LBB0_19:
	s_or_b64 exec, exec, s[2:3]
	s_waitcnt lgkmcnt(6)
	v_add_f32_e32 v157, v92, v86
	s_waitcnt lgkmcnt(5)
	v_add_f32_e32 v168, v157, v104
	v_add_f32_e32 v157, v86, v104
	v_fma_f32 v92, -0.5, v157, v92
	v_sub_f32_e32 v157, v87, v105
	v_mov_b32_e32 v170, v92
	v_fmac_f32_e32 v170, 0xbf5db3d7, v157
	v_fmac_f32_e32 v92, 0x3f5db3d7, v157
	v_add_f32_e32 v157, v93, v87
	v_add_f32_e32 v87, v87, v105
	v_fma_f32 v93, -0.5, v87, v93
	v_sub_f32_e32 v86, v86, v104
	v_mov_b32_e32 v171, v93
	v_fmac_f32_e32 v171, 0x3f5db3d7, v86
	v_fmac_f32_e32 v93, 0xbf5db3d7, v86
	s_waitcnt lgkmcnt(4)
	v_add_f32_e32 v86, v94, v100
	v_add_f32_e32 v104, v86, v106
	;; [unrolled: 1-line block ×3, first 2 shown]
	v_fma_f32 v94, -0.5, v86, v94
	v_sub_f32_e32 v86, v101, v107
	v_mov_b32_e32 v172, v94
	v_fmac_f32_e32 v172, 0xbf5db3d7, v86
	v_fmac_f32_e32 v94, 0x3f5db3d7, v86
	v_add_f32_e32 v86, v95, v101
	v_add_f32_e32 v169, v157, v105
	;; [unrolled: 1-line block ×4, first 2 shown]
	v_fmac_f32_e32 v95, -0.5, v86
	v_sub_f32_e32 v86, v100, v106
	v_mov_b32_e32 v173, v95
	v_fmac_f32_e32 v173, 0x3f5db3d7, v86
	v_fmac_f32_e32 v95, 0xbf5db3d7, v86
	s_waitcnt lgkmcnt(3)
	v_add_f32_e32 v86, v88, v102
	s_waitcnt lgkmcnt(2)
	v_add_f32_e32 v100, v86, v80
	v_add_f32_e32 v86, v102, v80
	v_fma_f32 v88, -0.5, v86, v88
	v_sub_f32_e32 v86, v103, v81
	v_mov_b32_e32 v106, v88
	v_fmac_f32_e32 v106, 0xbf5db3d7, v86
	v_fmac_f32_e32 v88, 0x3f5db3d7, v86
	v_add_f32_e32 v86, v89, v103
	v_add_f32_e32 v101, v86, v81
	;; [unrolled: 1-line block ×3, first 2 shown]
	v_fma_f32 v89, -0.5, v81, v89
	v_sub_f32_e32 v80, v102, v80
	v_mov_b32_e32 v107, v89
	v_fmac_f32_e32 v107, 0x3f5db3d7, v80
	v_fmac_f32_e32 v89, 0xbf5db3d7, v80
	s_waitcnt lgkmcnt(1)
	v_add_f32_e32 v80, v90, v96
	v_add_f32_e32 v102, v80, v82
	;; [unrolled: 1-line block ×3, first 2 shown]
	v_fma_f32 v90, -0.5, v80, v90
	v_sub_f32_e32 v80, v97, v83
	v_mov_b32_e32 v174, v90
	v_fmac_f32_e32 v174, 0xbf5db3d7, v80
	v_fmac_f32_e32 v90, 0x3f5db3d7, v80
	v_add_f32_e32 v80, v91, v97
	v_add_f32_e32 v103, v80, v83
	;; [unrolled: 1-line block ×3, first 2 shown]
	v_fmac_f32_e32 v91, -0.5, v80
	v_sub_f32_e32 v80, v96, v82
	v_mov_b32_e32 v175, v91
	s_waitcnt lgkmcnt(0)
	v_add_f32_e32 v81, v98, v76
	v_fmac_f32_e32 v175, 0x3f5db3d7, v80
	v_fmac_f32_e32 v91, 0xbf5db3d7, v80
	v_add_f32_e32 v80, v84, v98
	v_fma_f32 v84, -0.5, v81, v84
	v_sub_f32_e32 v81, v99, v77
	v_mov_b32_e32 v82, v84
	v_fmac_f32_e32 v82, 0xbf5db3d7, v81
	v_fmac_f32_e32 v84, 0x3f5db3d7, v81
	v_add_f32_e32 v81, v85, v99
	v_add_f32_e32 v81, v81, v77
	;; [unrolled: 1-line block ×3, first 2 shown]
	v_fmac_f32_e32 v85, -0.5, v77
	v_add_f32_e32 v80, v80, v76
	v_sub_f32_e32 v76, v98, v76
	v_mov_b32_e32 v83, v85
	v_fmac_f32_e32 v83, 0x3f5db3d7, v76
	v_fmac_f32_e32 v85, 0xbf5db3d7, v76
	v_add_f32_e32 v76, v78, v110
	v_add_f32_e32 v86, v76, v108
	;; [unrolled: 1-line block ×3, first 2 shown]
	v_fmac_f32_e32 v78, -0.5, v76
	v_sub_f32_e32 v77, v111, v109
	v_mov_b32_e32 v76, v78
	v_fmac_f32_e32 v76, 0xbf5db3d7, v77
	v_fmac_f32_e32 v78, 0x3f5db3d7, v77
	v_add_f32_e32 v77, v79, v111
	v_add_f32_e32 v87, v77, v109
	;; [unrolled: 1-line block ×3, first 2 shown]
	v_fmac_f32_e32 v79, -0.5, v77
	v_sub_f32_e32 v96, v110, v108
	v_mov_b32_e32 v77, v79
	v_fmac_f32_e32 v77, 0x3f5db3d7, v96
	v_fmac_f32_e32 v79, 0xbf5db3d7, v96
	s_waitcnt lgkmcnt(0)
	; wave barrier
	ds_write2_b64 v158, v[168:169], v[170:171] offset1:1
	ds_write_b64 v158, v[92:93] offset:16
	ds_write2_b64 v159, v[104:105], v[172:173] offset1:1
	ds_write_b64 v159, v[94:95] offset:16
	;; [unrolled: 2-line block ×5, first 2 shown]
	s_and_saveexec_b64 s[2:3], s[0:1]
	s_cbranch_execz .LBB0_21
; %bb.20:
	v_lshlrev_b32_e32 v88, 3, v163
	ds_write2_b64 v88, v[86:87], v[76:77] offset1:1
	ds_write_b64 v88, v[78:79] offset:16
.LBB0_21:
	s_or_b64 exec, exec, s[2:3]
	v_add_u32_e32 v92, 0x800, v153
	s_waitcnt lgkmcnt(0)
	; wave barrier
	s_waitcnt lgkmcnt(0)
	ds_read2_b64 v[88:91], v153 offset1:54
	ds_read2_b64 v[108:111], v153 offset0:144 offset1:198
	ds_read2_b64 v[104:107], v92 offset0:32 offset1:86
	;; [unrolled: 1-line block ×3, first 2 shown]
	v_add_u32_e32 v92, 0x1000, v153
	v_add_u32_e32 v157, 0x1400, v153
	ds_read2_b64 v[96:99], v92 offset0:64 offset1:118
	ds_read2_b64 v[92:95], v157 offset0:80 offset1:134
	s_and_saveexec_b64 s[2:3], vcc
	s_cbranch_execz .LBB0_23
; %bb.22:
	v_add_u32_e32 v80, 0xc00, v153
	ds_read2_b64 v[76:79], v157 offset0:44 offset1:188
	ds_read2_b64 v[84:87], v80 offset0:12 offset1:156
	;; [unrolled: 1-line block ×3, first 2 shown]
.LBB0_23:
	s_or_b64 exec, exec, s[2:3]
	s_waitcnt lgkmcnt(4)
	v_mul_f32_e32 v157, v13, v109
	v_mul_f32_e32 v13, v13, v108
	v_fmac_f32_e32 v157, v12, v108
	v_fma_f32 v12, v12, v109, -v13
	s_waitcnt lgkmcnt(3)
	v_mul_f32_e32 v13, v15, v105
	v_mul_f32_e32 v15, v15, v104
	v_fmac_f32_e32 v13, v14, v104
	v_fma_f32 v14, v14, v105, -v15
	;; [unrolled: 5-line block ×5, first 2 shown]
	v_mul_f32_e32 v4, v21, v110
	v_fma_f32 v105, v20, v111, -v4
	v_mul_f32_e32 v93, v23, v107
	v_mul_f32_e32 v4, v23, v106
	v_fmac_f32_e32 v93, v22, v106
	v_fma_f32 v106, v22, v107, -v4
	v_mul_f32_e32 v107, v17, v103
	v_mul_f32_e32 v4, v17, v102
	v_fmac_f32_e32 v107, v16, v102
	;; [unrolled: 4-line block ×4, first 2 shown]
	v_fma_f32 v94, v147, v95, -v4
	v_mul_f32_e32 v4, v9, v83
	v_mul_f32_e32 v5, v9, v82
	;; [unrolled: 1-line block ×3, first 2 shown]
	v_fmac_f32_e32 v4, v8, v82
	v_fma_f32 v6, v8, v83, -v5
	v_mul_f32_e32 v5, v11, v85
	v_fma_f32 v8, v10, v85, -v7
	v_mul_f32_e32 v7, v1, v87
	v_mul_f32_e32 v1, v1, v86
	v_add_f32_e32 v11, v13, v101
	v_fmac_f32_e32 v7, v0, v86
	v_fma_f32 v1, v0, v87, -v1
	v_mul_f32_e32 v0, v3, v77
	v_fma_f32 v11, -0.5, v11, v88
	v_fmac_f32_e32 v0, v2, v76
	v_mul_f32_e32 v3, v3, v76
	v_sub_f32_e32 v18, v14, v96
	v_mov_b32_e32 v76, v11
	v_fmac_f32_e32 v76, 0xbf5db3d7, v18
	v_fmac_f32_e32 v11, 0x3f5db3d7, v18
	v_add_f32_e32 v18, v89, v14
	v_add_f32_e32 v14, v14, v96
	v_fma_f32 v3, v2, v77, -v3
	v_mul_f32_e32 v2, v146, v79
	v_fma_f32 v14, -0.5, v14, v89
	v_fmac_f32_e32 v5, v10, v84
	v_fmac_f32_e32 v2, v145, v78
	v_mul_f32_e32 v9, v146, v78
	v_add_f32_e32 v10, v88, v13
	v_add_f32_e32 v77, v18, v96
	v_sub_f32_e32 v13, v13, v101
	v_mov_b32_e32 v78, v14
	v_add_f32_e32 v18, v15, v97
	v_fmac_f32_e32 v78, 0x3f5db3d7, v13
	v_fmac_f32_e32 v14, 0xbf5db3d7, v13
	v_add_f32_e32 v13, v157, v15
	v_fmac_f32_e32 v157, -0.5, v18
	v_mul_f32_e32 v104, v21, v111
	v_sub_f32_e32 v18, v100, v92
	v_mov_b32_e32 v21, v157
	v_fmac_f32_e32 v21, 0xbf5db3d7, v18
	v_fmac_f32_e32 v157, 0x3f5db3d7, v18
	v_add_f32_e32 v18, v12, v100
	v_fma_f32 v9, v145, v79, -v9
	v_add_f32_e32 v79, v18, v92
	v_add_f32_e32 v18, v100, v92
	v_fmac_f32_e32 v12, -0.5, v18
	v_sub_f32_e32 v15, v15, v97
	v_mov_b32_e32 v23, v12
	v_fmac_f32_e32 v12, 0xbf5db3d7, v15
	v_mul_f32_e32 v83, 0xbf5db3d7, v12
	v_fmac_f32_e32 v83, -0.5, v157
	v_add_f32_e32 v22, v11, v83
	v_mul_f32_e32 v12, -0.5, v12
	v_sub_f32_e32 v86, v11, v83
	v_add_f32_e32 v11, v93, v17
	v_add_f32_e32 v10, v10, v101
	;; [unrolled: 1-line block ×3, first 2 shown]
	v_fmac_f32_e32 v23, 0x3f5db3d7, v15
	v_fmac_f32_e32 v12, 0x3f5db3d7, v157
	v_fma_f32 v11, -0.5, v11, v90
	v_add_f32_e32 v18, v10, v13
	v_mul_f32_e32 v15, 0xbf5db3d7, v23
	v_mul_f32_e32 v85, 0.5, v23
	v_add_f32_e32 v23, v14, v12
	v_sub_f32_e32 v82, v10, v13
	v_sub_f32_e32 v87, v14, v12
	v_sub_f32_e32 v12, v106, v98
	v_mov_b32_e32 v13, v11
	v_add_f32_e32 v14, v106, v98
	v_fmac_f32_e32 v15, 0.5, v21
	v_add_f32_e32 v10, v90, v93
	v_fmac_f32_e32 v13, 0xbf5db3d7, v12
	v_fmac_f32_e32 v11, 0x3f5db3d7, v12
	v_add_f32_e32 v12, v91, v106
	v_fmac_f32_e32 v91, -0.5, v14
	v_fmac_f32_e32 v104, v20, v110
	v_add_f32_e32 v20, v76, v15
	v_sub_f32_e32 v84, v76, v15
	v_add_f32_e32 v10, v10, v17
	v_sub_f32_e32 v14, v93, v17
	v_mov_b32_e32 v15, v91
	v_add_f32_e32 v17, v107, v99
	v_fmac_f32_e32 v15, 0x3f5db3d7, v14
	v_fmac_f32_e32 v91, 0xbf5db3d7, v14
	v_add_f32_e32 v14, v104, v107
	v_fmac_f32_e32 v104, -0.5, v17
	v_sub_f32_e32 v17, v16, v94
	v_mov_b32_e32 v76, v104
	v_fmac_f32_e32 v76, 0xbf5db3d7, v17
	v_fmac_f32_e32 v104, 0x3f5db3d7, v17
	v_add_f32_e32 v17, v105, v16
	v_add_f32_e32 v16, v16, v94
	v_fmac_f32_e32 v105, -0.5, v16
	v_sub_f32_e32 v16, v107, v99
	v_add_f32_e32 v19, v77, v79
	v_fmac_f32_e32 v85, 0x3f5db3d7, v21
	v_sub_f32_e32 v83, v77, v79
	v_add_f32_e32 v14, v14, v99
	v_mov_b32_e32 v77, v105
	v_fmac_f32_e32 v105, 0xbf5db3d7, v16
	v_add_f32_e32 v21, v78, v85
	v_sub_f32_e32 v85, v78, v85
	v_add_f32_e32 v88, v10, v14
	v_mul_f32_e32 v78, 0xbf5db3d7, v105
	v_sub_f32_e32 v96, v10, v14
	v_add_f32_e32 v10, v0, v5
	v_add_f32_e32 v12, v12, v98
	;; [unrolled: 1-line block ×3, first 2 shown]
	v_fmac_f32_e32 v78, -0.5, v104
	v_fma_f32 v10, -0.5, v10, v80
	v_fmac_f32_e32 v77, 0x3f5db3d7, v16
	v_add_f32_e32 v94, v11, v78
	v_add_f32_e32 v89, v12, v17
	v_sub_f32_e32 v90, v11, v78
	v_sub_f32_e32 v97, v12, v17
	;; [unrolled: 1-line block ×3, first 2 shown]
	v_mov_b32_e32 v11, v10
	v_mul_f32_e32 v16, 0xbf5db3d7, v77
	v_fmac_f32_e32 v11, 0xbf5db3d7, v12
	v_fmac_f32_e32 v10, 0x3f5db3d7, v12
	v_add_f32_e32 v12, v3, v8
	v_fmac_f32_e32 v16, 0.5, v76
	v_mul_f32_e32 v77, 0.5, v77
	v_fma_f32 v12, -0.5, v12, v81
	v_add_f32_e32 v92, v13, v16
	v_fmac_f32_e32 v77, 0x3f5db3d7, v76
	v_mul_f32_e32 v76, -0.5, v105
	v_sub_f32_e32 v98, v13, v16
	v_sub_f32_e32 v14, v5, v0
	v_mov_b32_e32 v13, v12
	v_fmac_f32_e32 v76, 0x3f5db3d7, v104
	v_fmac_f32_e32 v13, 0x3f5db3d7, v14
	;; [unrolled: 1-line block ×3, first 2 shown]
	v_add_f32_e32 v14, v7, v2
	v_add_f32_e32 v95, v91, v76
	v_sub_f32_e32 v91, v91, v76
	v_fma_f32 v76, -0.5, v14, v4
	v_sub_f32_e32 v14, v1, v9
	v_mov_b32_e32 v17, v76
	v_fmac_f32_e32 v17, 0xbf5db3d7, v14
	v_fmac_f32_e32 v76, 0x3f5db3d7, v14
	v_add_f32_e32 v14, v1, v9
	v_add_f32_e32 v93, v15, v77
	v_sub_f32_e32 v99, v15, v77
	v_fma_f32 v77, -0.5, v14, v6
	v_sub_f32_e32 v14, v7, v2
	v_mov_b32_e32 v16, v77
	v_fmac_f32_e32 v16, 0x3f5db3d7, v14
	v_fmac_f32_e32 v77, 0xbf5db3d7, v14
	v_mul_f32_e32 v14, 0xbf5db3d7, v16
	v_mul_f32_e32 v16, 0.5, v16
	v_fmac_f32_e32 v14, 0.5, v17
	v_mul_f32_e32 v15, 0xbf5db3d7, v77
	v_fmac_f32_e32 v16, 0x3f5db3d7, v17
	v_mul_f32_e32 v17, -0.5, v77
	v_fmac_f32_e32 v15, -0.5, v76
	v_fmac_f32_e32 v17, 0x3f5db3d7, v76
	v_sub_f32_e32 v76, v11, v14
	v_sub_f32_e32 v78, v10, v15
	;; [unrolled: 1-line block ×4, first 2 shown]
	s_waitcnt lgkmcnt(0)
	; wave barrier
	ds_write2_b64 v165, v[18:19], v[20:21] offset1:3
	ds_write2_b64 v165, v[22:23], v[82:83] offset0:6 offset1:9
	ds_write2_b64 v165, v[84:85], v[86:87] offset0:12 offset1:15
	ds_write2_b64 v166, v[88:89], v[92:93] offset1:3
	ds_write2_b64 v166, v[94:95], v[96:97] offset0:6 offset1:9
	ds_write2_b64 v166, v[98:99], v[90:91] offset0:12 offset1:15
	s_and_saveexec_b64 s[2:3], vcc
	s_cbranch_execz .LBB0_25
; %bb.24:
	v_add_f32_e32 v8, v8, v81
	v_add_f32_e32 v8, v3, v8
	;; [unrolled: 1-line block ×8, first 2 shown]
	v_sub_f32_e32 v1, v8, v6
	v_add_f32_e32 v5, v13, v16
	v_add_f32_e32 v7, v8, v6
	;; [unrolled: 1-line block ×4, first 2 shown]
	v_add_lshl_u32 v8, v164, v156, 3
	v_sub_f32_e32 v0, v9, v18
	v_add_f32_e32 v3, v12, v17
	v_add_f32_e32 v2, v10, v15
	ds_write2_b64 v8, v[6:7], v[4:5] offset1:3
	ds_write2_b64 v8, v[2:3], v[0:1] offset0:6 offset1:9
	ds_write2_b64 v8, v[76:77], v[78:79] offset0:12 offset1:15
.LBB0_25:
	s_or_b64 exec, exec, s[2:3]
	s_waitcnt lgkmcnt(0)
	; wave barrier
	s_waitcnt lgkmcnt(0)
	ds_read2_b64 v[0:3], v153 offset1:54
	ds_read2_b64 v[4:7], v153 offset0:108 offset1:162
	v_add_u32_e32 v91, 0x400, v153
	ds_read2_b64 v[8:11], v91 offset0:88 offset1:142
	v_add_u32_e32 v80, 0x800, v153
	s_waitcnt lgkmcnt(2)
	v_mul_f32_e32 v92, v49, v3
	v_fmac_f32_e32 v92, v48, v2
	v_mul_f32_e32 v2, v49, v2
	v_fma_f32 v2, v48, v3, -v2
	s_waitcnt lgkmcnt(1)
	v_mul_f32_e32 v3, v51, v5
	v_fmac_f32_e32 v3, v50, v4
	v_mul_f32_e32 v4, v51, v4
	v_fma_f32 v4, v50, v5, -v4
	v_mul_f32_e32 v5, v41, v7
	v_fmac_f32_e32 v5, v40, v6
	v_mul_f32_e32 v6, v41, v6
	ds_read2_b64 v[12:15], v80 offset0:68 offset1:122
	ds_read2_b64 v[16:19], v80 offset0:176 offset1:230
	v_fma_f32 v6, v40, v7, -v6
	s_waitcnt lgkmcnt(2)
	v_mul_f32_e32 v7, v43, v9
	v_fmac_f32_e32 v7, v42, v8
	v_mul_f32_e32 v8, v43, v8
	v_fma_f32 v8, v42, v9, -v8
	v_mul_f32_e32 v9, v33, v11
	v_fmac_f32_e32 v9, v32, v10
	v_mul_f32_e32 v10, v33, v10
	v_fma_f32 v10, v32, v11, -v10
	s_waitcnt lgkmcnt(1)
	v_mul_f32_e32 v11, v35, v13
	v_fmac_f32_e32 v11, v34, v12
	v_mul_f32_e32 v12, v35, v12
	v_fma_f32 v12, v34, v13, -v12
	v_mul_f32_e32 v13, v29, v15
	v_add_u32_e32 v82, 0x1000, v153
	v_fmac_f32_e32 v13, v28, v14
	v_mul_f32_e32 v14, v29, v14
	ds_read2_b64 v[20:23], v82 offset0:28 offset1:82
	ds_read2_b64 v[83:86], v82 offset0:136 offset1:190
	v_fma_f32 v14, v28, v15, -v14
	s_waitcnt lgkmcnt(2)
	v_mul_f32_e32 v15, v31, v17
	v_fmac_f32_e32 v15, v30, v16
	v_mul_f32_e32 v16, v31, v16
	v_fma_f32 v16, v30, v17, -v16
	v_mul_f32_e32 v17, v53, v19
	v_add_u32_e32 v81, 0x1400, v153
	v_fmac_f32_e32 v17, v52, v18
	v_mul_f32_e32 v18, v53, v18
	ds_read2_b64 v[87:90], v81 offset0:116 offset1:170
	v_fma_f32 v18, v52, v19, -v18
	s_waitcnt lgkmcnt(2)
	v_mul_f32_e32 v19, v55, v21
	v_fmac_f32_e32 v19, v54, v20
	v_mul_f32_e32 v20, v55, v20
	v_fma_f32 v20, v54, v21, -v20
	v_mul_f32_e32 v21, v45, v23
	v_fmac_f32_e32 v21, v44, v22
	v_mul_f32_e32 v22, v45, v22
	v_fma_f32 v22, v44, v23, -v22
	s_waitcnt lgkmcnt(1)
	v_mul_f32_e32 v23, v47, v84
	v_mul_f32_e32 v28, v47, v83
	v_fmac_f32_e32 v23, v46, v83
	v_fma_f32 v28, v46, v84, -v28
	v_mul_f32_e32 v29, v37, v86
	s_waitcnt lgkmcnt(0)
	v_mul_f32_e32 v31, v39, v88
	v_mul_f32_e32 v32, v39, v87
	;; [unrolled: 1-line block ×3, first 2 shown]
	v_fmac_f32_e32 v29, v36, v85
	v_mul_f32_e32 v30, v37, v85
	v_fmac_f32_e32 v31, v38, v87
	v_fma_f32 v32, v38, v88, -v32
	v_fmac_f32_e32 v33, v151, v89
	v_mul_f32_e32 v34, v152, v89
	v_sub_f32_e32 v15, v0, v15
	v_sub_f32_e32 v16, v1, v16
	;; [unrolled: 1-line block ×4, first 2 shown]
	v_fma_f32 v30, v36, v86, -v30
	v_fma_f32 v34, v151, v90, -v34
	v_fma_f32 v7, v7, 2.0, -v23
	v_fma_f32 v8, v8, 2.0, -v28
	v_sub_f32_e32 v19, v3, v19
	v_sub_f32_e32 v20, v4, v20
	;; [unrolled: 1-line block ×8, first 2 shown]
	v_add_f32_e32 v28, v15, v28
	v_sub_f32_e32 v23, v16, v23
	v_fma_f32 v0, v0, 2.0, -v15
	v_fma_f32 v3, v3, 2.0, -v19
	;; [unrolled: 1-line block ×4, first 2 shown]
	v_sub_f32_e32 v18, v2, v18
	v_fma_f32 v35, v92, 2.0, -v17
	v_sub_f32_e32 v30, v10, v30
	v_fma_f32 v9, v9, 2.0, -v29
	v_sub_f32_e32 v22, v6, v22
	v_fma_f32 v5, v5, 2.0, -v21
	v_sub_f32_e32 v34, v14, v34
	v_fma_f32 v13, v13, 2.0, -v33
	v_fma_f32 v15, v15, 2.0, -v28
	v_add_f32_e32 v32, v19, v32
	v_sub_f32_e32 v31, v20, v31
	v_mov_b32_e32 v43, v23
	v_fma_f32 v1, v1, 2.0, -v16
	v_fma_f32 v4, v4, 2.0, -v20
	;; [unrolled: 1-line block ×6, first 2 shown]
	v_sub_f32_e32 v7, v0, v7
	v_fma_f32 v16, v16, 2.0, -v23
	v_sub_f32_e32 v11, v3, v11
	v_fma_f32 v19, v19, 2.0, -v32
	v_sub_f32_e32 v9, v35, v9
	v_sub_f32_e32 v13, v5, v13
	v_mov_b32_e32 v38, v15
	v_mov_b32_e32 v42, v28
	v_fmac_f32_e32 v43, 0x3f3504f3, v31
	v_sub_f32_e32 v8, v1, v8
	v_fma_f32 v0, v0, 2.0, -v7
	v_sub_f32_e32 v12, v4, v12
	v_fma_f32 v3, v3, 2.0, -v11
	v_fma_f32 v20, v20, 2.0, -v31
	v_sub_f32_e32 v10, v2, v10
	v_fma_f32 v35, v35, 2.0, -v9
	v_add_f32_e32 v30, v17, v30
	v_sub_f32_e32 v14, v6, v14
	v_fma_f32 v5, v5, 2.0, -v13
	v_fmac_f32_e32 v38, 0xbf3504f3, v19
	v_mov_b32_e32 v39, v16
	v_fmac_f32_e32 v42, 0x3f3504f3, v32
	v_fmac_f32_e32 v43, 0xbf3504f3, v32
	v_fma_f32 v1, v1, 2.0, -v8
	v_fma_f32 v4, v4, 2.0, -v12
	;; [unrolled: 1-line block ×3, first 2 shown]
	v_sub_f32_e32 v29, v18, v29
	v_fma_f32 v17, v17, 2.0, -v30
	v_fma_f32 v6, v6, 2.0, -v14
	v_add_f32_e32 v34, v21, v34
	v_sub_f32_e32 v36, v0, v3
	v_fmac_f32_e32 v39, 0xbf3504f3, v20
	v_fmac_f32_e32 v38, 0x3f3504f3, v20
	v_sub_f32_e32 v41, v8, v11
	v_fmac_f32_e32 v42, 0x3f3504f3, v31
	v_fma_f32 v20, v23, 2.0, -v43
	v_sub_f32_e32 v23, v35, v5
	v_fma_f32 v18, v18, 2.0, -v29
	v_sub_f32_e32 v33, v22, v33
	;; [unrolled: 2-line block ×3, first 2 shown]
	v_fma_f32 v3, v0, 2.0, -v36
	v_fmac_f32_e32 v39, 0xbf3504f3, v19
	v_add_f32_e32 v40, v7, v12
	v_fma_f32 v12, v8, 2.0, -v41
	v_fma_f32 v19, v28, 2.0, -v42
	v_sub_f32_e32 v28, v2, v6
	v_fma_f32 v0, v35, 2.0, -v23
	v_mov_b32_e32 v31, v17
	v_add_f32_e32 v35, v9, v14
	v_sub_f32_e32 v44, v10, v13
	v_mov_b32_e32 v46, v29
	v_fma_f32 v22, v22, 2.0, -v33
	v_fma_f32 v4, v1, 2.0, -v37
	;; [unrolled: 1-line block ×4, first 2 shown]
	v_fmac_f32_e32 v31, 0xbf3504f3, v21
	v_mov_b32_e32 v32, v18
	v_fma_f32 v13, v9, 2.0, -v35
	v_fma_f32 v10, v10, 2.0, -v44
	v_mov_b32_e32 v45, v30
	v_fmac_f32_e32 v46, 0x3f3504f3, v33
	v_mov_b32_e32 v9, v12
	v_fma_f32 v15, v15, 2.0, -v38
	v_fmac_f32_e32 v32, 0xbf3504f3, v22
	v_fmac_f32_e32 v31, 0x3f3504f3, v22
	;; [unrolled: 1-line block ×4, first 2 shown]
	v_sub_f32_e32 v0, v3, v0
	v_sub_f32_e32 v1, v4, v1
	v_mov_b32_e32 v8, v11
	v_fmac_f32_e32 v9, 0xbf3504f3, v10
	v_fma_f32 v16, v16, 2.0, -v39
	v_fmac_f32_e32 v32, 0xbf3504f3, v21
	v_fma_f32 v6, v17, 2.0, -v31
	;; [unrolled: 2-line block ×3, first 2 shown]
	v_fma_f32 v2, v3, 2.0, -v0
	v_fma_f32 v3, v4, 2.0, -v1
	v_mov_b32_e32 v4, v15
	v_fmac_f32_e32 v8, 0xbf3504f3, v13
	v_fmac_f32_e32 v9, 0xbf3504f3, v13
	v_mov_b32_e32 v13, v20
	v_fma_f32 v7, v18, 2.0, -v32
	v_fma_f32 v14, v30, 2.0, -v45
	v_fmac_f32_e32 v4, 0xbf6c835e, v6
	v_mov_b32_e32 v5, v16
	v_fmac_f32_e32 v13, 0xbec3ef15, v17
	v_fmac_f32_e32 v5, 0xbf6c835e, v7
	;; [unrolled: 1-line block ×5, first 2 shown]
	v_fma_f32 v6, v15, 2.0, -v4
	v_fma_f32 v15, v20, 2.0, -v13
	v_mov_b32_e32 v20, v38
	v_fmac_f32_e32 v8, 0x3f3504f3, v10
	v_fmac_f32_e32 v20, 0x3ec3ef15, v31
	v_mov_b32_e32 v21, v39
	v_fma_f32 v7, v16, 2.0, -v5
	v_fma_f32 v10, v11, 2.0, -v8
	;; [unrolled: 1-line block ×3, first 2 shown]
	v_mov_b32_e32 v12, v19
	v_add_f32_e32 v16, v36, v28
	v_fmac_f32_e32 v21, 0x3ec3ef15, v32
	v_fmac_f32_e32 v20, 0x3f6c835e, v32
	v_mov_b32_e32 v28, v40
	v_mov_b32_e32 v29, v41
	;; [unrolled: 1-line block ×4, first 2 shown]
	v_fmac_f32_e32 v12, 0xbec3ef15, v14
	v_fmac_f32_e32 v28, 0x3f3504f3, v35
	;; [unrolled: 1-line block ×6, first 2 shown]
	v_sub_f32_e32 v17, v37, v23
	v_fmac_f32_e32 v21, 0xbf6c835e, v31
	v_fmac_f32_e32 v28, 0x3f3504f3, v44
	;; [unrolled: 1-line block ×5, first 2 shown]
	v_fma_f32 v14, v19, 2.0, -v12
	v_fma_f32 v18, v36, 2.0, -v16
	;; [unrolled: 1-line block ×9, first 2 shown]
	s_waitcnt lgkmcnt(0)
	; wave barrier
	ds_write2_b64 v167, v[2:3], v[6:7] offset1:18
	ds_write2_b64 v167, v[10:11], v[14:15] offset0:36 offset1:54
	ds_write2_b64 v167, v[18:19], v[22:23] offset0:72 offset1:90
	;; [unrolled: 1-line block ×6, first 2 shown]
	v_add_u32_e32 v0, 0x400, v167
	ds_write2_b64 v0, v[28:29], v[32:33] offset0:124 offset1:142
	s_waitcnt lgkmcnt(0)
	; wave barrier
	s_waitcnt lgkmcnt(0)
	ds_read2_b64 v[8:11], v153 offset1:54
	ds_read2_b64 v[0:3], v91 offset0:88 offset1:160
	ds_read2_b64 v[28:31], v82 offset0:64 offset1:118
	ds_read2_b64 v[20:23], v80 offset0:86 offset1:140
	ds_read2_b64 v[4:7], v153 offset0:108 offset1:162
	ds_read2_b64 v[16:19], v82 offset0:172 offset1:226
	ds_read2_b64 v[12:15], v80 offset0:194 offset1:248
	ds_read_b64 v[34:35], v153 offset:6336
	s_and_saveexec_b64 s[2:3], s[0:1]
	s_cbranch_execz .LBB0_27
; %bb.26:
	ds_read_b64 v[32:33], v153 offset:2160
	ds_read_b64 v[76:77], v153 offset:4464
	;; [unrolled: 1-line block ×3, first 2 shown]
.LBB0_27:
	s_or_b64 exec, exec, s[2:3]
	s_waitcnt lgkmcnt(6)
	v_mul_f32_e32 v36, v57, v3
	v_fmac_f32_e32 v36, v56, v2
	v_mul_f32_e32 v2, v57, v2
	v_fma_f32 v37, v56, v3, -v2
	s_waitcnt lgkmcnt(5)
	v_mul_f32_e32 v38, v59, v29
	v_mul_f32_e32 v2, v59, v28
	v_fmac_f32_e32 v38, v58, v28
	v_fma_f32 v28, v58, v29, -v2
	s_waitcnt lgkmcnt(4)
	v_mul_f32_e32 v29, v61, v21
	v_mul_f32_e32 v2, v61, v20
	v_fmac_f32_e32 v29, v60, v20
	v_fma_f32 v20, v60, v21, -v2
	v_mul_f32_e32 v21, v63, v31
	v_mul_f32_e32 v2, v63, v30
	v_fmac_f32_e32 v21, v62, v30
	v_fma_f32 v30, v62, v31, -v2
	;; [unrolled: 4-line block ×3, first 2 shown]
	s_waitcnt lgkmcnt(2)
	v_mul_f32_e32 v2, v67, v16
	v_fma_f32 v39, v66, v17, -v2
	s_waitcnt lgkmcnt(1)
	v_mul_f32_e32 v2, v69, v12
	v_fma_f32 v41, v68, v13, -v2
	v_mul_f32_e32 v2, v71, v18
	v_fma_f32 v43, v70, v19, -v2
	;; [unrolled: 2-line block ×3, first 2 shown]
	s_waitcnt lgkmcnt(0)
	v_mul_f32_e32 v2, v75, v34
	v_add_f32_e32 v3, v36, v38
	v_mul_f32_e32 v40, v69, v13
	v_mul_f32_e32 v46, v75, v35
	v_fma_f32 v35, v74, v35, -v2
	v_add_f32_e32 v2, v8, v36
	v_fma_f32 v8, -0.5, v3, v8
	v_fmac_f32_e32 v40, v68, v12
	v_sub_f32_e32 v3, v37, v28
	v_mov_b32_e32 v12, v8
	v_add_f32_e32 v13, v37, v28
	v_mul_f32_e32 v44, v73, v15
	v_fmac_f32_e32 v12, 0xbf5db3d7, v3
	v_fmac_f32_e32 v8, 0x3f5db3d7, v3
	v_add_f32_e32 v3, v9, v37
	v_fma_f32 v9, -0.5, v13, v9
	v_fmac_f32_e32 v44, v72, v14
	v_sub_f32_e32 v14, v36, v38
	v_mov_b32_e32 v13, v9
	v_add_f32_e32 v15, v29, v21
	v_mul_f32_e32 v23, v67, v17
	v_fmac_f32_e32 v13, 0x3f5db3d7, v14
	v_fmac_f32_e32 v9, 0xbf5db3d7, v14
	;; [unrolled: 9-line block ×3, first 2 shown]
	v_add_f32_e32 v15, v11, v20
	v_fmac_f32_e32 v11, -0.5, v17
	v_fmac_f32_e32 v42, v70, v18
	v_sub_f32_e32 v18, v29, v21
	v_mov_b32_e32 v17, v11
	v_add_f32_e32 v19, v31, v23
	v_fmac_f32_e32 v17, 0x3f5db3d7, v18
	v_fmac_f32_e32 v11, 0xbf5db3d7, v18
	v_add_f32_e32 v18, v4, v31
	v_fma_f32 v4, -0.5, v19, v4
	v_add_f32_e32 v14, v14, v21
	v_sub_f32_e32 v19, v22, v39
	v_mov_b32_e32 v20, v4
	v_add_f32_e32 v21, v22, v39
	v_fmac_f32_e32 v20, 0xbf5db3d7, v19
	v_fmac_f32_e32 v4, 0x3f5db3d7, v19
	v_add_f32_e32 v19, v5, v22
	v_fma_f32 v5, -0.5, v21, v5
	v_add_f32_e32 v18, v18, v23
	;; [unrolled: 8-line block ×3, first 2 shown]
	v_sub_f32_e32 v23, v41, v43
	v_mov_b32_e32 v28, v6
	v_add_f32_e32 v29, v41, v43
	v_fmac_f32_e32 v46, v74, v34
	v_fmac_f32_e32 v28, 0xbf5db3d7, v23
	;; [unrolled: 1-line block ×3, first 2 shown]
	v_add_f32_e32 v23, v7, v41
	v_fmac_f32_e32 v7, -0.5, v29
	v_add_f32_e32 v15, v15, v30
	v_sub_f32_e32 v30, v40, v42
	v_mov_b32_e32 v29, v7
	v_add_f32_e32 v31, v44, v46
	v_fmac_f32_e32 v29, 0x3f5db3d7, v30
	v_fmac_f32_e32 v7, 0xbf5db3d7, v30
	v_add_f32_e32 v30, v0, v44
	v_fma_f32 v0, -0.5, v31, v0
	v_sub_f32_e32 v31, v45, v35
	v_mov_b32_e32 v34, v0
	v_fmac_f32_e32 v34, 0xbf5db3d7, v31
	v_fmac_f32_e32 v0, 0x3f5db3d7, v31
	v_add_f32_e32 v31, v1, v45
	v_add_f32_e32 v31, v31, v35
	;; [unrolled: 1-line block ×3, first 2 shown]
	v_fmac_f32_e32 v1, -0.5, v35
	v_sub_f32_e32 v36, v44, v46
	v_mov_b32_e32 v35, v1
	v_add_f32_e32 v2, v2, v38
	v_add_f32_e32 v19, v19, v39
	;; [unrolled: 1-line block ×5, first 2 shown]
	v_fmac_f32_e32 v35, 0x3f5db3d7, v36
	v_fmac_f32_e32 v1, 0xbf5db3d7, v36
	ds_write_b64 v153, v[12:13] offset:2304
	ds_write_b64 v153, v[8:9] offset:4608
	ds_write2_b64 v153, v[2:3], v[14:15] offset1:54
	ds_write2_b64 v80, v[16:17], v[20:21] offset0:86 offset1:140
	ds_write2_b64 v82, v[10:11], v[4:5] offset0:118 offset1:172
	;; [unrolled: 1-line block ×3, first 2 shown]
	ds_write_b64 v153, v[30:31] offset:1728
	ds_write2_b64 v80, v[28:29], v[34:35] offset0:194 offset1:248
	ds_write2_b64 v81, v[6:7], v[0:1] offset0:98 offset1:152
	s_and_saveexec_b64 s[2:3], s[0:1]
	s_cbranch_execz .LBB0_29
; %bb.28:
	v_mul_f32_e32 v0, v25, v76
	v_fma_f32 v2, v24, v77, -v0
	v_mul_f32_e32 v0, v27, v78
	v_fma_f32 v4, v26, v79, -v0
	v_add_f32_e32 v0, v2, v4
	v_mul_f32_e32 v6, v25, v77
	v_mul_f32_e32 v7, v27, v79
	v_fma_f32 v1, -0.5, v0, v33
	v_fmac_f32_e32 v6, v24, v76
	v_fmac_f32_e32 v7, v26, v78
	v_sub_f32_e32 v0, v6, v7
	v_mov_b32_e32 v3, v1
	v_fmac_f32_e32 v3, 0xbf5db3d7, v0
	v_fmac_f32_e32 v1, 0x3f5db3d7, v0
	v_add_f32_e32 v0, v33, v2
	v_add_f32_e32 v5, v0, v4
	;; [unrolled: 1-line block ×3, first 2 shown]
	v_fma_f32 v0, -0.5, v0, v32
	v_sub_f32_e32 v4, v2, v4
	v_mov_b32_e32 v2, v0
	v_fmac_f32_e32 v2, 0x3f5db3d7, v4
	v_fmac_f32_e32 v0, 0xbf5db3d7, v4
	v_add_f32_e32 v4, v32, v6
	v_add_f32_e32 v4, v4, v7
	ds_write_b64 v153, v[4:5] offset:2160
	ds_write_b64 v153, v[0:1] offset:4464
	;; [unrolled: 1-line block ×3, first 2 shown]
.LBB0_29:
	s_or_b64 exec, exec, s[2:3]
	s_waitcnt lgkmcnt(0)
	; wave barrier
	s_waitcnt lgkmcnt(0)
	ds_read2_b64 v[0:3], v153 offset1:54
	v_mad_u64_u32 v[8:9], s[2:3], s10, v134, 0
	s_mov_b32 s2, 0xbda12f68
	s_mov_b32 s3, 0x3f52f684
	s_waitcnt lgkmcnt(0)
	v_mul_f32_e32 v4, v144, v1
	v_fmac_f32_e32 v4, v143, v0
	v_cvt_f64_f32_e32 v[4:5], v4
	v_mul_f32_e32 v0, v144, v0
	v_fma_f32 v0, v143, v1, -v0
	v_cvt_f64_f32_e32 v[0:1], v0
	v_mul_f64 v[4:5], v[4:5], s[2:3]
	v_mad_u64_u32 v[10:11], s[4:5], s8, v155, 0
	v_mov_b32_e32 v6, v9
	v_mad_u64_u32 v[6:7], s[4:5], s11, v134, v[6:7]
	v_mul_f64 v[0:1], v[0:1], s[2:3]
	v_add_u32_e32 v20, 0x1000, v153
	v_cvt_f32_f64_e32 v12, v[4:5]
	v_mov_b32_e32 v4, v11
	v_mad_u64_u32 v[14:15], s[4:5], s9, v155, v[4:5]
	v_add_u32_e32 v4, 0x400, v153
	v_mov_b32_e32 v9, v6
	ds_read2_b64 v[4:7], v4 offset0:88 offset1:160
	v_cvt_f32_f64_e32 v13, v[0:1]
	v_lshlrev_b64 v[0:1], 3, v[8:9]
	v_mov_b32_e32 v11, v14
	v_mov_b32_e32 v14, s7
	s_waitcnt lgkmcnt(0)
	v_mul_f32_e32 v8, v142, v7
	v_fmac_f32_e32 v8, v141, v6
	v_mul_f32_e32 v6, v142, v6
	v_fma_f32 v6, v141, v7, -v6
	v_cvt_f64_f32_e32 v[8:9], v8
	v_cvt_f64_f32_e32 v[6:7], v6
	v_add_co_u32_e32 v18, vcc, s6, v0
	v_addc_co_u32_e32 v19, vcc, v14, v1, vcc
	v_mul_f64 v[0:1], v[8:9], s[2:3]
	v_mul_f64 v[6:7], v[6:7], s[2:3]
	v_lshlrev_b64 v[8:9], 3, v[10:11]
	s_mul_i32 s4, s9, 0x120
	v_add_co_u32_e32 v10, vcc, v18, v8
	v_addc_co_u32_e32 v11, vcc, v19, v9, vcc
	v_cvt_f32_f64_e32 v0, v[0:1]
	v_cvt_f32_f64_e32 v1, v[6:7]
	ds_read2_b64 v[6:9], v20 offset0:64 offset1:118
	global_store_dwordx2 v[10:11], v[12:13], off
	s_mul_hi_u32 s5, s8, 0x120
	s_add_i32 s5, s5, s4
	s_mul_i32 s4, s8, 0x120
	s_waitcnt lgkmcnt(0)
	v_mul_f32_e32 v12, v140, v7
	v_fmac_f32_e32 v12, v139, v6
	v_mul_f32_e32 v6, v140, v6
	v_fma_f32 v6, v139, v7, -v6
	v_cvt_f64_f32_e32 v[12:13], v12
	v_cvt_f64_f32_e32 v[6:7], v6
	v_mad_u64_u32 v[14:15], s[6:7], s8, v154, 0
	s_lshl_b64 s[4:5], s[4:5], 3
	v_mov_b32_e32 v21, s5
	v_add_co_u32_e32 v10, vcc, s4, v10
	v_mul_f64 v[12:13], v[12:13], s[2:3]
	v_mul_f64 v[6:7], v[6:7], s[2:3]
	v_addc_co_u32_e32 v11, vcc, v11, v21, vcc
	global_store_dwordx2 v[10:11], v[0:1], off
	v_mov_b32_e32 v0, v15
	v_mad_u64_u32 v[0:1], s[6:7], s9, v154, v[0:1]
	v_cvt_f32_f64_e32 v12, v[12:13]
	v_cvt_f32_f64_e32 v13, v[6:7]
	v_mov_b32_e32 v15, v0
	v_mul_f32_e32 v0, v138, v3
	v_fmac_f32_e32 v0, v137, v2
	v_lshlrev_b64 v[6:7], 3, v[14:15]
	v_cvt_f64_f32_e32 v[14:15], v0
	v_mul_f32_e32 v0, v138, v2
	v_fma_f32 v0, v137, v3, -v0
	v_add_u32_e32 v22, 0x800, v153
	v_cvt_f64_f32_e32 v[16:17], v0
	ds_read2_b64 v[0:3], v22 offset0:86 offset1:140
	v_add_co_u32_e32 v6, vcc, v18, v6
	v_addc_co_u32_e32 v7, vcc, v19, v7, vcc
	global_store_dwordx2 v[6:7], v[12:13], off
	v_mul_f64 v[6:7], v[14:15], s[2:3]
	s_waitcnt lgkmcnt(0)
	v_mul_f32_e32 v14, v136, v1
	v_fmac_f32_e32 v14, v135, v0
	v_mul_f32_e32 v0, v136, v0
	v_mul_f64 v[12:13], v[16:17], s[2:3]
	v_fma_f32 v0, v135, v1, -v0
	v_cvt_f64_f32_e32 v[0:1], v0
	v_cvt_f64_f32_e32 v[14:15], v14
	v_cvt_f32_f64_e32 v6, v[6:7]
	v_mov_b32_e32 v7, 0xfffff8b0
	v_mul_f64 v[0:1], v[0:1], s[2:3]
	v_mul_f64 v[14:15], v[14:15], s[2:3]
	v_mad_u64_u32 v[10:11], s[6:7], s8, v7, v[10:11]
	v_cvt_f32_f64_e32 v7, v[12:13]
	s_mul_i32 s6, s9, 0xfffff8b0
	s_sub_i32 s6, s6, s8
	v_add_u32_e32 v11, s6, v11
	global_store_dwordx2 v[10:11], v[6:7], off
	v_mul_f32_e32 v6, v133, v8
	v_cvt_f32_f64_e32 v13, v[0:1]
	v_mul_f32_e32 v0, v133, v9
	v_fma_f32 v6, v132, v9, -v6
	v_cvt_f32_f64_e32 v12, v[14:15]
	v_fmac_f32_e32 v0, v132, v8
	v_cvt_f64_f32_e32 v[14:15], v6
	ds_read2_b64 v[6:9], v153 offset0:108 offset1:162
	v_cvt_f64_f32_e32 v[0:1], v0
	v_add_co_u32_e32 v10, vcc, s4, v10
	v_mul_f64 v[14:15], v[14:15], s[2:3]
	s_waitcnt lgkmcnt(0)
	v_mul_f32_e32 v16, v131, v7
	v_mul_f64 v[0:1], v[0:1], s[2:3]
	v_fmac_f32_e32 v16, v130, v6
	v_mul_f32_e32 v6, v131, v6
	v_fma_f32 v6, v130, v7, -v6
	v_cvt_f64_f32_e32 v[16:17], v16
	v_cvt_f64_f32_e32 v[6:7], v6
	v_addc_co_u32_e32 v11, vcc, v11, v21, vcc
	global_store_dwordx2 v[10:11], v[12:13], off
	v_mul_f64 v[12:13], v[16:17], s[2:3]
	v_mul_f64 v[6:7], v[6:7], s[2:3]
	v_cvt_f32_f64_e32 v0, v[0:1]
	v_cvt_f32_f64_e32 v1, v[14:15]
	v_add_co_u32_e32 v10, vcc, s4, v10
	v_addc_co_u32_e32 v11, vcc, v11, v21, vcc
	global_store_dwordx2 v[10:11], v[0:1], off
	v_mul_f32_e32 v0, v129, v3
	v_fmac_f32_e32 v0, v128, v2
	v_cvt_f32_f64_e32 v12, v[12:13]
	v_cvt_f32_f64_e32 v13, v[6:7]
	v_cvt_f64_f32_e32 v[6:7], v0
	v_mul_f32_e32 v0, v129, v2
	v_fma_f32 v0, v128, v3, -v0
	v_cvt_f64_f32_e32 v[14:15], v0
	ds_read2_b64 v[0:3], v20 offset0:172 offset1:226
	s_mul_hi_u32 s7, s8, 0xfffffdf6
	s_mul_i32 s6, s9, 0xfffffdf6
	s_sub_i32 s7, s7, s8
	v_mul_f64 v[6:7], v[6:7], s[2:3]
	s_waitcnt lgkmcnt(0)
	v_mul_f32_e32 v16, v127, v1
	v_fmac_f32_e32 v16, v126, v0
	v_mul_f32_e32 v0, v127, v0
	v_mul_f64 v[14:15], v[14:15], s[2:3]
	v_fma_f32 v0, v126, v1, -v0
	s_add_i32 s7, s7, s6
	s_mul_i32 s6, s8, 0xfffffdf6
	v_cvt_f64_f32_e32 v[16:17], v16
	v_cvt_f64_f32_e32 v[0:1], v0
	s_lshl_b64 s[6:7], s[6:7], 3
	v_mov_b32_e32 v18, s7
	v_add_co_u32_e32 v10, vcc, s6, v10
	v_addc_co_u32_e32 v11, vcc, v11, v18, vcc
	global_store_dwordx2 v[10:11], v[12:13], off
	v_mul_f64 v[12:13], v[16:17], s[2:3]
	v_mul_f64 v[0:1], v[0:1], s[2:3]
	v_cvt_f32_f64_e32 v6, v[6:7]
	v_cvt_f32_f64_e32 v7, v[14:15]
	v_add_co_u32_e32 v10, vcc, s4, v10
	v_addc_co_u32_e32 v11, vcc, v11, v21, vcc
	global_store_dwordx2 v[10:11], v[6:7], off
	v_mul_f32_e32 v6, v125, v8
	v_cvt_f32_f64_e32 v12, v[12:13]
	v_cvt_f32_f64_e32 v13, v[0:1]
	v_mul_f32_e32 v0, v125, v9
	v_fma_f32 v6, v124, v9, -v6
	v_fmac_f32_e32 v0, v124, v8
	v_cvt_f64_f32_e32 v[14:15], v6
	ds_read2_b64 v[6:9], v22 offset0:194 offset1:248
	v_cvt_f64_f32_e32 v[0:1], v0
	v_add_co_u32_e32 v10, vcc, s4, v10
	v_mul_f64 v[14:15], v[14:15], s[2:3]
	s_waitcnt lgkmcnt(0)
	v_mul_f32_e32 v16, v123, v7
	v_fmac_f32_e32 v16, v122, v6
	v_mul_f32_e32 v6, v123, v6
	v_fma_f32 v6, v122, v7, -v6
	v_mul_f64 v[0:1], v[0:1], s[2:3]
	v_cvt_f64_f32_e32 v[6:7], v6
	v_cvt_f64_f32_e32 v[16:17], v16
	v_addc_co_u32_e32 v11, vcc, v11, v21, vcc
	v_mul_f64 v[6:7], v[6:7], s[2:3]
	global_store_dwordx2 v[10:11], v[12:13], off
	v_mul_f64 v[12:13], v[16:17], s[2:3]
	v_cvt_f32_f64_e32 v0, v[0:1]
	v_cvt_f32_f64_e32 v1, v[14:15]
	v_add_co_u32_e32 v10, vcc, s6, v10
	v_addc_co_u32_e32 v11, vcc, v11, v18, vcc
	global_store_dwordx2 v[10:11], v[0:1], off
	v_cvt_f32_f64_e32 v1, v[6:7]
	v_mul_f32_e32 v6, v121, v3
	v_fmac_f32_e32 v6, v120, v2
	v_cvt_f64_f32_e32 v[6:7], v6
	v_mul_f32_e32 v2, v121, v2
	v_fma_f32 v2, v120, v3, -v2
	v_cvt_f64_f32_e32 v[2:3], v2
	v_cvt_f32_f64_e32 v0, v[12:13]
	v_mul_f64 v[6:7], v[6:7], s[2:3]
	v_mul_f32_e32 v12, v119, v5
	v_fmac_f32_e32 v12, v118, v4
	v_mul_f32_e32 v4, v119, v4
	v_fma_f32 v4, v118, v5, -v4
	v_mul_f64 v[2:3], v[2:3], s[2:3]
	v_cvt_f64_f32_e32 v[4:5], v4
	v_cvt_f64_f32_e32 v[12:13], v12
	v_add_co_u32_e32 v10, vcc, s4, v10
	v_addc_co_u32_e32 v11, vcc, v11, v21, vcc
	v_mul_f64 v[4:5], v[4:5], s[2:3]
	global_store_dwordx2 v[10:11], v[0:1], off
	v_cvt_f32_f64_e32 v0, v[6:7]
	v_mul_f64 v[6:7], v[12:13], s[2:3]
	v_cvt_f32_f64_e32 v1, v[2:3]
	v_add_co_u32_e32 v2, vcc, s4, v10
	v_addc_co_u32_e32 v3, vcc, v11, v21, vcc
	global_store_dwordx2 v[2:3], v[0:1], off
	v_cvt_f32_f64_e32 v1, v[4:5]
	v_mul_f32_e32 v4, v117, v9
	v_cvt_f32_f64_e32 v0, v[6:7]
	v_fmac_f32_e32 v4, v116, v8
	v_mul_f32_e32 v6, v117, v8
	v_cvt_f64_f32_e32 v[4:5], v4
	v_fma_f32 v6, v116, v9, -v6
	ds_read_b64 v[8:9], v153 offset:6336
	v_cvt_f64_f32_e32 v[6:7], v6
	v_mul_f64 v[4:5], v[4:5], s[2:3]
	v_add_co_u32_e32 v2, vcc, s6, v2
	s_waitcnt lgkmcnt(0)
	v_mul_f32_e32 v10, v115, v9
	v_fmac_f32_e32 v10, v114, v8
	v_mul_f32_e32 v8, v115, v8
	v_fma_f32 v8, v114, v9, -v8
	v_cvt_f64_f32_e32 v[10:11], v10
	v_cvt_f64_f32_e32 v[8:9], v8
	v_mul_f64 v[6:7], v[6:7], s[2:3]
	v_addc_co_u32_e32 v3, vcc, v3, v18, vcc
	global_store_dwordx2 v[2:3], v[0:1], off
	v_cvt_f32_f64_e32 v0, v[4:5]
	v_mul_f64 v[4:5], v[10:11], s[2:3]
	v_mul_f64 v[8:9], v[8:9], s[2:3]
	v_add_co_u32_e32 v2, vcc, s4, v2
	v_cvt_f32_f64_e32 v1, v[6:7]
	v_addc_co_u32_e32 v3, vcc, v3, v21, vcc
	s_movk_i32 s10, 0x1000
	v_cvt_f32_f64_e32 v4, v[4:5]
	v_cvt_f32_f64_e32 v5, v[8:9]
	global_store_dwordx2 v[2:3], v[0:1], off
	v_add_co_u32_e32 v0, vcc, s4, v2
	v_addc_co_u32_e32 v1, vcc, v3, v21, vcc
	global_store_dwordx2 v[0:1], v[4:5], off
	s_and_b64 exec, exec, s[0:1]
	s_cbranch_execz .LBB0_31
; %bb.30:
	global_load_dwordx2 v[2:3], v[112:113], off offset:2160
	ds_read_b64 v[4:5], v153 offset:2160
	ds_read_b64 v[6:7], v153 offset:4464
	;; [unrolled: 1-line block ×3, first 2 shown]
	v_mov_b32_e32 v12, s7
	s_waitcnt vmcnt(0) lgkmcnt(2)
	v_mul_f32_e32 v10, v5, v3
	v_mul_f32_e32 v3, v4, v3
	v_fmac_f32_e32 v10, v4, v2
	v_fma_f32 v4, v2, v5, -v3
	v_cvt_f64_f32_e32 v[2:3], v10
	v_cvt_f64_f32_e32 v[4:5], v4
	v_add_co_u32_e32 v10, vcc, s10, v112
	v_mul_f64 v[2:3], v[2:3], s[2:3]
	v_mul_f64 v[4:5], v[4:5], s[2:3]
	v_addc_co_u32_e32 v11, vcc, 0, v113, vcc
	v_add_co_u32_e32 v0, vcc, s6, v0
	v_addc_co_u32_e32 v1, vcc, v1, v12, vcc
	v_cvt_f32_f64_e32 v2, v[2:3]
	v_cvt_f32_f64_e32 v3, v[4:5]
	global_store_dwordx2 v[0:1], v[2:3], off
	global_load_dwordx2 v[2:3], v[10:11], off offset:368
	v_add_co_u32_e32 v0, vcc, s4, v0
	s_waitcnt vmcnt(0) lgkmcnt(1)
	v_mul_f32_e32 v4, v7, v3
	v_mul_f32_e32 v3, v6, v3
	v_fmac_f32_e32 v4, v6, v2
	v_fma_f32 v5, v2, v7, -v3
	v_cvt_f64_f32_e32 v[2:3], v4
	v_cvt_f64_f32_e32 v[4:5], v5
	v_mov_b32_e32 v6, s5
	v_addc_co_u32_e32 v1, vcc, v1, v6, vcc
	v_mul_f64 v[2:3], v[2:3], s[2:3]
	v_mul_f64 v[4:5], v[4:5], s[2:3]
	v_cvt_f32_f64_e32 v2, v[2:3]
	v_cvt_f32_f64_e32 v3, v[4:5]
	global_store_dwordx2 v[0:1], v[2:3], off
	global_load_dwordx2 v[2:3], v[10:11], off offset:2672
	v_add_co_u32_e32 v0, vcc, s4, v0
	v_addc_co_u32_e32 v1, vcc, v1, v6, vcc
	s_waitcnt vmcnt(0) lgkmcnt(0)
	v_mul_f32_e32 v4, v9, v3
	v_mul_f32_e32 v3, v8, v3
	v_fmac_f32_e32 v4, v8, v2
	v_fma_f32 v5, v2, v9, -v3
	v_cvt_f64_f32_e32 v[2:3], v4
	v_cvt_f64_f32_e32 v[4:5], v5
	v_mul_f64 v[2:3], v[2:3], s[2:3]
	v_mul_f64 v[4:5], v[4:5], s[2:3]
	v_cvt_f32_f64_e32 v2, v[2:3]
	v_cvt_f32_f64_e32 v3, v[4:5]
	global_store_dwordx2 v[0:1], v[2:3], off
.LBB0_31:
	s_endpgm
	.section	.rodata,"a",@progbits
	.p2align	6, 0x0
	.amdhsa_kernel bluestein_single_back_len864_dim1_sp_op_CI_CI
		.amdhsa_group_segment_fixed_size 6912
		.amdhsa_private_segment_fixed_size 0
		.amdhsa_kernarg_size 104
		.amdhsa_user_sgpr_count 6
		.amdhsa_user_sgpr_private_segment_buffer 1
		.amdhsa_user_sgpr_dispatch_ptr 0
		.amdhsa_user_sgpr_queue_ptr 0
		.amdhsa_user_sgpr_kernarg_segment_ptr 1
		.amdhsa_user_sgpr_dispatch_id 0
		.amdhsa_user_sgpr_flat_scratch_init 0
		.amdhsa_user_sgpr_private_segment_size 0
		.amdhsa_uses_dynamic_stack 0
		.amdhsa_system_sgpr_private_segment_wavefront_offset 0
		.amdhsa_system_sgpr_workgroup_id_x 1
		.amdhsa_system_sgpr_workgroup_id_y 0
		.amdhsa_system_sgpr_workgroup_id_z 0
		.amdhsa_system_sgpr_workgroup_info 0
		.amdhsa_system_vgpr_workitem_id 0
		.amdhsa_next_free_vgpr 208
		.amdhsa_next_free_sgpr 18
		.amdhsa_reserve_vcc 1
		.amdhsa_reserve_flat_scratch 0
		.amdhsa_float_round_mode_32 0
		.amdhsa_float_round_mode_16_64 0
		.amdhsa_float_denorm_mode_32 3
		.amdhsa_float_denorm_mode_16_64 3
		.amdhsa_dx10_clamp 1
		.amdhsa_ieee_mode 1
		.amdhsa_fp16_overflow 0
		.amdhsa_exception_fp_ieee_invalid_op 0
		.amdhsa_exception_fp_denorm_src 0
		.amdhsa_exception_fp_ieee_div_zero 0
		.amdhsa_exception_fp_ieee_overflow 0
		.amdhsa_exception_fp_ieee_underflow 0
		.amdhsa_exception_fp_ieee_inexact 0
		.amdhsa_exception_int_div_zero 0
	.end_amdhsa_kernel
	.text
.Lfunc_end0:
	.size	bluestein_single_back_len864_dim1_sp_op_CI_CI, .Lfunc_end0-bluestein_single_back_len864_dim1_sp_op_CI_CI
                                        ; -- End function
	.section	.AMDGPU.csdata,"",@progbits
; Kernel info:
; codeLenInByte = 13836
; NumSgprs: 22
; NumVgprs: 208
; ScratchSize: 0
; MemoryBound: 0
; FloatMode: 240
; IeeeMode: 1
; LDSByteSize: 6912 bytes/workgroup (compile time only)
; SGPRBlocks: 2
; VGPRBlocks: 51
; NumSGPRsForWavesPerEU: 22
; NumVGPRsForWavesPerEU: 208
; Occupancy: 1
; WaveLimiterHint : 1
; COMPUTE_PGM_RSRC2:SCRATCH_EN: 0
; COMPUTE_PGM_RSRC2:USER_SGPR: 6
; COMPUTE_PGM_RSRC2:TRAP_HANDLER: 0
; COMPUTE_PGM_RSRC2:TGID_X_EN: 1
; COMPUTE_PGM_RSRC2:TGID_Y_EN: 0
; COMPUTE_PGM_RSRC2:TGID_Z_EN: 0
; COMPUTE_PGM_RSRC2:TIDIG_COMP_CNT: 0
	.type	__hip_cuid_5963a7a951ab800e,@object ; @__hip_cuid_5963a7a951ab800e
	.section	.bss,"aw",@nobits
	.globl	__hip_cuid_5963a7a951ab800e
__hip_cuid_5963a7a951ab800e:
	.byte	0                               ; 0x0
	.size	__hip_cuid_5963a7a951ab800e, 1

	.ident	"AMD clang version 19.0.0git (https://github.com/RadeonOpenCompute/llvm-project roc-6.4.0 25133 c7fe45cf4b819c5991fe208aaa96edf142730f1d)"
	.section	".note.GNU-stack","",@progbits
	.addrsig
	.addrsig_sym __hip_cuid_5963a7a951ab800e
	.amdgpu_metadata
---
amdhsa.kernels:
  - .args:
      - .actual_access:  read_only
        .address_space:  global
        .offset:         0
        .size:           8
        .value_kind:     global_buffer
      - .actual_access:  read_only
        .address_space:  global
        .offset:         8
        .size:           8
        .value_kind:     global_buffer
      - .actual_access:  read_only
        .address_space:  global
        .offset:         16
        .size:           8
        .value_kind:     global_buffer
      - .actual_access:  read_only
        .address_space:  global
        .offset:         24
        .size:           8
        .value_kind:     global_buffer
      - .actual_access:  read_only
        .address_space:  global
        .offset:         32
        .size:           8
        .value_kind:     global_buffer
      - .offset:         40
        .size:           8
        .value_kind:     by_value
      - .address_space:  global
        .offset:         48
        .size:           8
        .value_kind:     global_buffer
      - .address_space:  global
        .offset:         56
        .size:           8
        .value_kind:     global_buffer
      - .address_space:  global
        .offset:         64
        .size:           8
        .value_kind:     global_buffer
      - .address_space:  global
        .offset:         72
        .size:           8
        .value_kind:     global_buffer
      - .offset:         80
        .size:           4
        .value_kind:     by_value
      - .address_space:  global
        .offset:         88
        .size:           8
        .value_kind:     global_buffer
      - .address_space:  global
        .offset:         96
        .size:           8
        .value_kind:     global_buffer
    .group_segment_fixed_size: 6912
    .kernarg_segment_align: 8
    .kernarg_segment_size: 104
    .language:       OpenCL C
    .language_version:
      - 2
      - 0
    .max_flat_workgroup_size: 54
    .name:           bluestein_single_back_len864_dim1_sp_op_CI_CI
    .private_segment_fixed_size: 0
    .sgpr_count:     22
    .sgpr_spill_count: 0
    .symbol:         bluestein_single_back_len864_dim1_sp_op_CI_CI.kd
    .uniform_work_group_size: 1
    .uses_dynamic_stack: false
    .vgpr_count:     208
    .vgpr_spill_count: 0
    .wavefront_size: 64
amdhsa.target:   amdgcn-amd-amdhsa--gfx906
amdhsa.version:
  - 1
  - 2
...

	.end_amdgpu_metadata
